;; amdgpu-corpus repo=ROCm/aiter kind=harvested arch=n/a opt=n/a

/root/src/amdgpu-assembly/repos/ROCm__aiter/hsa/gfx950/fmoe_2stages/fmoe_stage1_bf16_pertokenFp8_doweight_g1u1_48x256_pf3.co:	file format elf64-amdgpu

Disassembly of section .text:

0000000000002a00 <_ZN5aiter53fmoe_stage1_bf16_pertokenFp8_doweight_g1u1_48x256_pf3E>:
	s_and_b32 s1, s1, 0xffff                                   // 000000002A00: 8601FF01 0000FFFF
	s_load_dwordx2 s[8:9], s[0:1], 0x0                         // 000000002A08: C0060200 00000000
	s_load_dwordx2 s[20:21], s[0:1], 0x10                      // 000000002A10: C0060500 00000010
	s_load_dwordx2 s[24:25], s[0:1], 0x20                      // 000000002A18: C0060600 00000020
	s_load_dwordx2 s[48:49], s[0:1], 0x30                      // 000000002A20: C0060C00 00000030
	s_load_dwordx2 s[28:29], s[0:1], 0x40                      // 000000002A28: C0060700 00000040
	s_load_dwordx2 s[32:33], s[0:1], 0x50                      // 000000002A30: C0060800 00000050
	s_load_dwordx2 s[36:37], s[0:1], 0x60                      // 000000002A38: C0060900 00000060
	s_load_dwordx2 s[12:13], s[0:1], 0x70                      // 000000002A40: C0060300 00000070
	s_load_dwordx2 s[44:45], s[0:1], 0x80                      // 000000002A48: C0060B00 00000080
	s_mov_b32 s89, 0                                           // 000000002A50: BED90080
	s_load_dword s64, s[0:1], 0x90                             // 000000002A54: C0021000 00000090
	s_load_dword s65, s[0:1], 0xa0                             // 000000002A5C: C0021040 000000A0
	s_load_dword s66, s[0:1], 0xb0                             // 000000002A64: C0021080 000000B0
	s_load_dword s67, s[0:1], 0xc0                             // 000000002A6C: C00210C0 000000C0
	s_load_dword s68, s[0:1], 0xd0                             // 000000002A74: C0021100 000000D0
	s_load_dword s69, s[0:1], 0xe0                             // 000000002A7C: C0021140 000000E0
	s_load_dword s71, s[0:1], 0xf0                             // 000000002A84: C00211C0 000000F0
	s_load_dword s72, s[0:1], 0x100                            // 000000002A8C: C0021200 00000100
	s_load_dword s74, s[0:1], 0x110                            // 000000002A94: C0021280 00000110
	s_load_dword s76, s[0:1], 0x120                            // 000000002A9C: C0021300 00000120
	s_load_dword s56, s[0:1], 0x130                            // 000000002AA4: C0020E00 00000130
	s_load_dword s88, s[0:1], 0x140                            // 000000002AAC: C0021600 00000140
	s_load_dword s89, s[0:1], 0x150                            // 000000002AB4: C0021640 00000150
	s_load_dwordx2 s[40:41], s[0:1], 0x160                     // 000000002ABC: C0060A00 00000160
	v_lshrrev_b32_e32 v1, 10, v0                               // 000000002AC4: 2002008A
	v_lshrrev_b32_e32 v2, 10, v1                               // 000000002AC8: 2004028A
	v_and_b32_e32 v2, 0x3ff, v2                                // 000000002ACC: 260404FF 000003FF
	v_and_b32_e32 v1, 0x3ff, v1                                // 000000002AD4: 260202FF 000003FF
	v_and_b32_e32 v0, 0x3ff, v0                                // 000000002ADC: 260000FF 000003FF
	v_lshrrev_b32_e32 v3, 6, v0                                // 000000002AE4: 20060086
	v_and_b32_e32 v0, 63, v0                                   // 000000002AE8: 260000BF
	s_mov_b32 s2, s2                                           // 000000002AEC: BE820002
	s_mov_b32 s3, s3                                           // 000000002AF0: BE830003
	s_mov_b32 s4, s4                                           // 000000002AF4: BE840004
	v_readfirstlane_b32 s7, v3                                 // 000000002AF8: 7E0E0503
	s_waitcnt lgkmcnt(0)                                       // 000000002AFC: BF8CC07F
	s_and_b32 s49, s49, 0xffff                                 // 000000002B00: 8631FF31 0000FFFF
	s_load_dword s48, s[48:49], 0x0                            // 000000002B08: C0020C18 00000000
	s_and_b32 s45, s45, 0xffff                                 // 000000002B10: 862DFF2D 0000FFFF
	s_and_b32 s9, s9, 0xffff                                   // 000000002B18: 8609FF09 0000FFFF
	s_mul_i32 s60, s66, s68                                    // 000000002B20: 923C4442
	s_mul_i32 s61, s66, 4                                      // 000000002B24: 923D8442
	s_mov_b32 s22, s60                                         // 000000002B28: BE96003C
	s_mov_b32 s26, -16                                         // 000000002B2C: BE9A00D0
	s_mov_b32 s30, s61                                         // 000000002B30: BE9E003D
	s_mov_b32 s14, 0xc0                                        // 000000002B34: BE8E00FF 000000C0
	s_mov_b32 s38, -16                                         // 000000002B3C: BEA600D0
	s_mov_b32 s10, -16                                         // 000000002B40: BE8A00D0
	s_mov_b32 s34, 0x400                                       // 000000002B44: BEA200FF 00000400
	s_mov_b32 s23, 0x20000                                     // 000000002B4C: BE9700FF 00020000
	s_mov_b32 s27, 0x20000                                     // 000000002B54: BE9B00FF 00020000
	s_mov_b32 s31, 0x20000                                     // 000000002B5C: BE9F00FF 00020000
	s_mov_b32 s35, 0x20000                                     // 000000002B64: BEA300FF 00020000
	s_mov_b32 s15, 0x20000                                     // 000000002B6C: BE8F00FF 00020000
	s_mov_b32 s39, 0x20000                                     // 000000002B74: BEA700FF 00020000
	s_mov_b32 s11, 0x20000                                     // 000000002B7C: BE8B00FF 00020000
	s_and_b32 s21, s21, 0xffff                                 // 000000002B84: 8615FF15 0000FFFF
	s_and_b32 s25, s25, 0xffff                                 // 000000002B8C: 8619FF19 0000FFFF
	s_and_b32 s29, s29, 0xffff                                 // 000000002B94: 861DFF1D 0000FFFF
	s_and_b32 s33, s33, 0xffff                                 // 000000002B9C: 8621FF21 0000FFFF
	s_and_b32 s13, s13, 0xffff                                 // 000000002BA4: 860DFF0D 0000FFFF
	s_and_b32 s37, s37, 0xffff                                 // 000000002BAC: 8625FF25 0000FFFF
	s_or_b32 s21, s21, 0x40000                                 // 000000002BB4: 8715FF15 00040000
	s_or_b32 s25, s25, 0x40000                                 // 000000002BBC: 8719FF19 00040000
	s_or_b32 s29, s29, 0x40000                                 // 000000002BC4: 871DFF1D 00040000
	s_or_b32 s33, s33, 0x40000                                 // 000000002BCC: 8721FF21 00040000
	s_or_b32 s13, s13, 0x40000                                 // 000000002BD4: 870DFF0D 00040000
	s_or_b32 s37, s37, 0x40000                                 // 000000002BDC: 8725FF25 00040000
	s_mov_b32 s42, -16                                         // 000000002BE4: BEAA00D0
	s_mov_b32 s43, 0x20000                                     // 000000002BE8: BEAB00FF 00020000
	s_and_b32 s41, s41, 0xffff                                 // 000000002BF0: 8629FF29 0000FFFF
	s_or_b32 s41, s41, 0x40000                                 // 000000002BF8: 8729FF29 00040000
	v_accvgpr_write_b32 a143, 0                                // 000000002C00: D3D9408F 18000080
	v_mov_b32_e32 v150, 0                                      // 000000002C08: 7F2C0280
	s_waitcnt lgkmcnt(0)                                       // 000000002C0C: BF8CC07F
	s_mul_i32 s60, s3, 48                                      // 000000002C10: 923CB003
	s_cmp_lt_i32 s60, s48                                      // 000000002C14: BF04303C
	s_cbranch_scc0 label_2689                                  // 000000002C18: BF8425FF
	s_mov_b32 s80, 0                                           // 000000002C1C: BED00080
	s_lshr_b32 s81, s64, s88                                   // 000000002C20: 8F515840
	s_mul_i32 s60, s3, 4                                       // 000000002C24: 923C8403
	s_add_u32 s44, s60, s44                                    // 000000002C28: 802C2C3C
	s_addc_u32 s45, 0, s45                                     // 000000002C2C: 822D2D80
	s_load_dword s5, s[44:45], 0x0                             // 000000002C30: C0020156 00000000
	s_mul_i32 s60, s3, 48                                      // 000000002C38: 923CB003
	s_mul_i32 s60, 4, s60                                      // 000000002C3C: 923C3C84
	s_add_u32 s12, s60, s12                                    // 000000002C40: 800C0C3C
	s_addc_u32 s13, 0, s13                                     // 000000002C44: 820D0D80
	v_and_b32_e32 v4, 15, v0                                   // 000000002C48: 2608008F
	v_lshlrev_b32_e32 v4, 2, v4                                // 000000002C4C: 24080882
	buffer_load_dword v30, v4, s[12:15], 0 offen               // 000000002C50: E0501000 80031E04
	v_add_u32_e32 v4, 64, v4                                   // 000000002C58: 680808C0
	buffer_load_dword v31, v4, s[12:15], 0 offen               // 000000002C5C: E0501000 80031F04
	v_add_u32_e32 v4, 64, v4                                   // 000000002C64: 680808C0
	buffer_load_dword v32, v4, s[12:15], 0 offen               // 000000002C68: E0501000 80032004
	v_add_u32_e32 v4, 64, v4                                   // 000000002C70: 680808C0
	s_mul_i32 s60, 4, s7                                       // 000000002C74: 923C0784
	v_lshlrev_b32_e32 v4, 4, v0                                // 000000002C78: 24080084
	v_add_u32_e32 v4, s60, v4                                  // 000000002C7C: 6808083C
	buffer_load_dword v3, v4, s[12:15], 0 offen                // 000000002C80: E0501000 80030304
	v_mov_b32_e32 v52, 0                                       // 000000002C88: 7E680280
	v_mov_b32_e32 v100, 0                                      // 000000002C8C: 7EC80280
	v_mov_b32_e32 v53, 0                                       // 000000002C90: 7E6A0280
	v_mov_b32_e32 v101, 0                                      // 000000002C94: 7ECA0280
	v_mov_b32_e32 v54, 0                                       // 000000002C98: 7E6C0280
	v_mov_b32_e32 v102, 0                                      // 000000002C9C: 7ECC0280
	v_mov_b32_e32 v55, 0                                       // 000000002CA0: 7E6E0280
	v_mov_b32_e32 v103, 0                                      // 000000002CA4: 7ECE0280
	v_mov_b32_e32 v56, 0                                       // 000000002CA8: 7E700280
	v_mov_b32_e32 v104, 0                                      // 000000002CAC: 7ED00280
	v_mov_b32_e32 v57, 0                                       // 000000002CB0: 7E720280
	v_mov_b32_e32 v105, 0                                      // 000000002CB4: 7ED20280
	v_mov_b32_e32 v58, 0                                       // 000000002CB8: 7E740280
	v_mov_b32_e32 v106, 0                                      // 000000002CBC: 7ED40280
	v_mov_b32_e32 v59, 0                                       // 000000002CC0: 7E760280
	v_mov_b32_e32 v107, 0                                      // 000000002CC4: 7ED60280
	v_mov_b32_e32 v60, 0                                       // 000000002CC8: 7E780280
	v_mov_b32_e32 v108, 0                                      // 000000002CCC: 7ED80280
	v_mov_b32_e32 v61, 0                                       // 000000002CD0: 7E7A0280
	v_mov_b32_e32 v109, 0                                      // 000000002CD4: 7EDA0280
	v_mov_b32_e32 v62, 0                                       // 000000002CD8: 7E7C0280
	v_mov_b32_e32 v110, 0                                      // 000000002CDC: 7EDC0280
	v_mov_b32_e32 v63, 0                                       // 000000002CE0: 7E7E0280
	v_mov_b32_e32 v111, 0                                      // 000000002CE4: 7EDE0280
	v_mov_b32_e32 v64, 0                                       // 000000002CE8: 7E800280
	v_mov_b32_e32 v112, 0                                      // 000000002CEC: 7EE00280
	v_mov_b32_e32 v65, 0                                       // 000000002CF0: 7E820280
	v_mov_b32_e32 v113, 0                                      // 000000002CF4: 7EE20280
	v_mov_b32_e32 v66, 0                                       // 000000002CF8: 7E840280
	v_mov_b32_e32 v114, 0                                      // 000000002CFC: 7EE40280
	v_mov_b32_e32 v67, 0                                       // 000000002D00: 7E860280
	v_mov_b32_e32 v115, 0                                      // 000000002D04: 7EE60280
	v_mov_b32_e32 v68, 0                                       // 000000002D08: 7E880280
	v_mov_b32_e32 v116, 0                                      // 000000002D0C: 7EE80280
	v_mov_b32_e32 v69, 0                                       // 000000002D10: 7E8A0280
	v_mov_b32_e32 v117, 0                                      // 000000002D14: 7EEA0280
	v_mov_b32_e32 v70, 0                                       // 000000002D18: 7E8C0280
	v_mov_b32_e32 v118, 0                                      // 000000002D1C: 7EEC0280
	v_mov_b32_e32 v71, 0                                       // 000000002D20: 7E8E0280
	v_mov_b32_e32 v119, 0                                      // 000000002D24: 7EEE0280
	v_mov_b32_e32 v72, 0                                       // 000000002D28: 7E900280
	v_mov_b32_e32 v120, 0                                      // 000000002D2C: 7EF00280
	v_mov_b32_e32 v73, 0                                       // 000000002D30: 7E920280
	v_mov_b32_e32 v121, 0                                      // 000000002D34: 7EF20280
	v_mov_b32_e32 v74, 0                                       // 000000002D38: 7E940280
	v_mov_b32_e32 v122, 0                                      // 000000002D3C: 7EF40280
	v_mov_b32_e32 v75, 0                                       // 000000002D40: 7E960280
	v_mov_b32_e32 v123, 0                                      // 000000002D44: 7EF60280
	v_mov_b32_e32 v76, 0                                       // 000000002D48: 7E980280
	v_mov_b32_e32 v124, 0                                      // 000000002D4C: 7EF80280
	v_mov_b32_e32 v77, 0                                       // 000000002D50: 7E9A0280
	v_mov_b32_e32 v125, 0                                      // 000000002D54: 7EFA0280
	v_mov_b32_e32 v78, 0                                       // 000000002D58: 7E9C0280
	v_mov_b32_e32 v126, 0                                      // 000000002D5C: 7EFC0280
	v_mov_b32_e32 v79, 0                                       // 000000002D60: 7E9E0280
	v_mov_b32_e32 v127, 0                                      // 000000002D64: 7EFE0280
	v_mov_b32_e32 v80, 0                                       // 000000002D68: 7EA00280
	v_mov_b32_e32 v128, 0                                      // 000000002D6C: 7F000280
	v_mov_b32_e32 v81, 0                                       // 000000002D70: 7EA20280
	v_mov_b32_e32 v129, 0                                      // 000000002D74: 7F020280
	v_mov_b32_e32 v82, 0                                       // 000000002D78: 7EA40280
	v_mov_b32_e32 v130, 0                                      // 000000002D7C: 7F040280
	v_mov_b32_e32 v83, 0                                       // 000000002D80: 7EA60280
	v_mov_b32_e32 v131, 0                                      // 000000002D84: 7F060280
	v_mov_b32_e32 v84, 0                                       // 000000002D88: 7EA80280
	v_mov_b32_e32 v132, 0                                      // 000000002D8C: 7F080280
	v_mov_b32_e32 v85, 0                                       // 000000002D90: 7EAA0280
	v_mov_b32_e32 v133, 0                                      // 000000002D94: 7F0A0280
	v_mov_b32_e32 v86, 0                                       // 000000002D98: 7EAC0280
	v_mov_b32_e32 v134, 0                                      // 000000002D9C: 7F0C0280
	v_mov_b32_e32 v87, 0                                       // 000000002DA0: 7EAE0280
	v_mov_b32_e32 v135, 0                                      // 000000002DA4: 7F0E0280
	v_mov_b32_e32 v88, 0                                       // 000000002DA8: 7EB00280
	v_mov_b32_e32 v136, 0                                      // 000000002DAC: 7F100280
	v_mov_b32_e32 v89, 0                                       // 000000002DB0: 7EB20280
	v_mov_b32_e32 v137, 0                                      // 000000002DB4: 7F120280
	v_mov_b32_e32 v90, 0                                       // 000000002DB8: 7EB40280
	v_mov_b32_e32 v138, 0                                      // 000000002DBC: 7F140280
	v_mov_b32_e32 v91, 0                                       // 000000002DC0: 7EB60280
	v_mov_b32_e32 v139, 0                                      // 000000002DC4: 7F160280
	v_mov_b32_e32 v92, 0                                       // 000000002DC8: 7EB80280
	v_mov_b32_e32 v140, 0                                      // 000000002DCC: 7F180280
	v_mov_b32_e32 v93, 0                                       // 000000002DD0: 7EBA0280
	v_mov_b32_e32 v141, 0                                      // 000000002DD4: 7F1A0280
	v_mov_b32_e32 v94, 0                                       // 000000002DD8: 7EBC0280
	v_mov_b32_e32 v142, 0                                      // 000000002DDC: 7F1C0280
	v_mov_b32_e32 v95, 0                                       // 000000002DE0: 7EBE0280
	v_mov_b32_e32 v143, 0                                      // 000000002DE4: 7F1E0280
	v_mov_b32_e32 v96, 0                                       // 000000002DE8: 7EC00280
	v_mov_b32_e32 v144, 0                                      // 000000002DEC: 7F200280
	v_mov_b32_e32 v97, 0                                       // 000000002DF0: 7EC20280
	v_mov_b32_e32 v145, 0                                      // 000000002DF4: 7F220280
	v_mov_b32_e32 v98, 0                                       // 000000002DF8: 7EC40280
	v_mov_b32_e32 v146, 0                                      // 000000002DFC: 7F240280
	v_mov_b32_e32 v99, 0                                       // 000000002E00: 7EC60280
	v_mov_b32_e32 v147, 0                                      // 000000002E04: 7F260280
	s_mul_i32 s60, s2, 0x200                                   // 000000002E08: 923CFF02 00000200
	s_cmp_eq_u32 s88, 0                                        // 000000002E10: BF068058
	s_cselect_b32 s61, 1, 2                                    // 000000002E14: 853D8281
	s_mul_i32 s60, s60, s61                                    // 000000002E18: 923C3D3C
	s_mov_b32 s90, s8                                          // 000000002E1C: BEDA0008
	s_mov_b32 s91, s9                                          // 000000002E20: BEDB0009
	s_add_u32 s8, s60, s8                                      // 000000002E24: 8008083C
	s_addc_u32 s9, 0, s9                                       // 000000002E28: 82090980
	v_lshrrev_b32_e32 v4, 4, v0                                // 000000002E2C: 20080084
	v_mul_lo_u32 v20, 34, v4                                   // 000000002E30: D2850014 000208A2
	v_and_b32_e32 v4, 15, v0                                   // 000000002E38: 2608008F
	v_mul_lo_u32 v5, 2, v4                                     // 000000002E3C: D2850005 00020882
	v_add_u32_e32 v20, v5, v20                                 // 000000002E44: 68282905
	s_mul_i32 s60, s7, 0x88                                    // 000000002E48: 923CFF07 00000088
	v_add_u32_e32 v20, s60, v20                                // 000000002E50: 6828283C
	v_lshlrev_b32_e32 v20, 2, v20                              // 000000002E54: 24282882
	v_and_b32_e32 v4, 31, v0                                   // 000000002E58: 2608009F
	v_lshrrev_b32_e32 v4, 1, v4                                // 000000002E5C: 20080881
	v_mul_lo_u32 v21, 34, v4                                   // 000000002E60: D2850015 000208A2
	v_lshrrev_b32_e32 v4, 5, v0                                // 000000002E68: 20080085
	v_mul_lo_u32 v4, 8, v4                                     // 000000002E6C: D2850004 00020888
	v_add_u32_e32 v21, v21, v4                                 // 000000002E74: 682A0915
	v_and_b32_e32 v5, 1, v0                                    // 000000002E78: 260A0081
	v_add_u32_e32 v21, v5, v21                                 // 000000002E7C: 682A2B05
	s_mul_i32 s60, s7, 2                                       // 000000002E80: 923C8207
	v_add_u32_e32 v21, s60, v21                                // 000000002E84: 682A2A3C
	v_lshlrev_b32_e32 v21, 2, v21                              // 000000002E88: 242A2A82
	s_mul_i32 s60, s7, 0x620                                   // 000000002E8C: 923CFF07 00000620
	s_add_u32 s48, 0, s60                                      // 000000002E94: 80303C80
	s_add_u32 s49, 0x1880, s48                                 // 000000002E98: 803130FF 00001880
	s_add_u32 s50, 0x1880, s49                                 // 000000002EA0: 803231FF 00001880
	v_lshrrev_b32_e32 v4, 4, v0                                // 000000002EA8: 20080084
	v_lshlrev_b32_e32 v5, 2, v4                                // 000000002EAC: 240A0882
	v_and_b32_e32 v4, 15, v0                                   // 000000002EB0: 2608008F
	v_lshrrev_b32_e32 v6, 2, v4                                // 000000002EB4: 200C0882
	v_lshlrev_b32_e32 v6, 5, v6                                // 000000002EB8: 240C0C85
	v_add_u32_e32 v5, v6, v5                                   // 000000002EBC: 680A0B06
	v_and_b32_e32 v4, 3, v0                                    // 000000002EC0: 26080083
	v_mul_u32_u24_e32 v6, 0x188, v4                            // 000000002EC4: 100C08FF 00000188
	v_add_u32_e32 v5, v6, v5                                   // 000000002ECC: 680A0B06
	v_lshlrev_b32_e32 v2, 2, v5                                // 000000002ED0: 24040A82
	s_waitcnt lgkmcnt(0)                                       // 000000002ED4: BF8CC07F
	s_mul_i32 s60, s2, 0x100                                   // 000000002ED8: 923CFF02 00000100
	s_mul_i32 s60, s60, s69                                    // 000000002EE0: 923C453C
	s_mul_i32 s61, s5, s72                                     // 000000002EE4: 923D4805
	s_add_u32 s60, s61, s60                                    // 000000002EE8: 803C3C3D
	s_add_u32 s24, s60, s24                                    // 000000002EEC: 8018183C
	s_addc_u32 s25, 0, s25                                     // 000000002EF0: 82191980
	s_lshr_b32 s60, s64, s88                                   // 000000002EF4: 8F3C5840
	s_mul_i32 s60, s4, s60                                     // 000000002EF8: 923C3C04
	s_lshr_b32 s60, s60, 7                                     // 000000002EFC: 8F3C873C
	s_mul_i32 s60, s60, 0x800                                  // 000000002F00: 923CFF3C 00000800
	s_add_u32 s24, s60, s24                                    // 000000002F08: 8018183C
	s_addc_u32 s25, 0, s25                                     // 000000002F0C: 82191980
	s_lshr_b32 s60, s69, s88                                   // 000000002F10: 8F3C5845
	s_mul_i32 s60, s4, s60                                     // 000000002F14: 923C3C04
	s_add_u32 s20, s60, s20                                    // 000000002F18: 8014143C
	s_addc_u32 s21, 0, s21                                     // 000000002F1C: 82151580
	s_mul_i32 s60, s7, 16                                      // 000000002F20: 923C9007
	s_mul_i32 s60, s60, s69                                    // 000000002F24: 923C453C
	v_lshlrev_b32_e32 v48, 4, v0                               // 000000002F28: 24600084
	v_add_u32_e32 v48, s60, v48                                // 000000002F2C: 6860603C
	s_mul_i32 s60, 64, s69                                     // 000000002F30: 923C45C0
	v_add_u32_e32 v49, s60, v48                                // 000000002F34: 6862603C
	v_add_u32_e32 v50, s60, v49                                // 000000002F38: 6864623C
	v_add_u32_e32 v51, s60, v50                                // 000000002F3C: 6866643C
	s_mov_b32 s84, s24                                         // 000000002F40: BED40018
	s_mov_b32 s85, s25                                         // 000000002F44: BED50019
	s_mov_b32 s86, s26                                         // 000000002F48: BED6001A
	s_mov_b32 s87, s27                                         // 000000002F4C: BED7001B
	s_mul_i32 s60, s69, s65                                    // 000000002F50: 923C4145
	s_add_u32 s84, s60, s84                                    // 000000002F54: 8054543C
	s_addc_u32 s85, 0, s85                                     // 000000002F58: 82555580
	v_lshrrev_b32_e32 v4, 4, v0                                // 000000002F5C: 20080084
	v_lshlrev_b32_e32 v5, 2, v4                                // 000000002F60: 240A0882
	v_and_b32_e32 v4, 15, v0                                   // 000000002F64: 2608008F
	v_lshrrev_b32_e32 v6, 2, v4                                // 000000002F68: 200C0882
	v_lshlrev_b32_e32 v6, 6, v6                                // 000000002F6C: 240C0C86
	v_add_u32_e32 v5, v6, v5                                   // 000000002F70: 680A0B06
	v_and_b32_e32 v4, 3, v0                                    // 000000002F74: 26080083
	v_add_u32_e32 v5, v4, v5                                   // 000000002F78: 680A0B04
	v_lshlrev_b32_e32 v22, 2, v5                               // 000000002F7C: 242C0A82
	s_mul_i32 s60, s7, 16                                      // 000000002F80: 923C9007
	s_mul_i32 s60, s60, 4                                      // 000000002F84: 923C843C
	v_add_u32_e32 v22, s60, v22                                // 000000002F88: 682C2C3C
	s_mul_i32 s60, s2, 0x100                                   // 000000002F8C: 923CFF02 00000100
	s_mul_i32 s60, s60, 4                                      // 000000002F94: 923C843C
	s_mul_i32 s61, s5, s74                                     // 000000002F98: 923D4A05
	s_add_u32 s61, s61, s60                                    // 000000002F9C: 803D3C3D
	s_add_u32 s32, s61, s32                                    // 000000002FA0: 8020203D
	s_addc_u32 s33, 0, s33                                     // 000000002FA4: 82212180
	s_mov_b32 s57, 0x80                                        // 000000002FA8: BEB900FF 00000080
	s_mov_b32 s58, 0x800                                       // 000000002FB0: BEBA00FF 00000800
	s_mov_b32 s83, s58                                         // 000000002FB8: BED3003A
	s_mov_b32 s52, 0x7060302                                   // 000000002FBC: BEB400FF 07060302
	s_mov_b32 s53, 0x400                                       // 000000002FC4: BEB500FF 00000400
	s_mov_b32 s54, 0x40100                                     // 000000002FCC: BEB600FF 00040100
	s_mov_b32 s55, 0x4020100                                   // 000000002FD4: BEB700FF 04020100
	s_mov_b32 s6, 0x3fb8aa3b                                   // 000000002FDC: BE8600FF 3FB8AA3B
	s_mov_b32 s78, 0xbd92220c                                  // 000000002FE4: BECE00FF BD92220C
	s_mov_b32 s79, 0xbd92220c                                  // 000000002FEC: BECF00FF BD92220C
	s_mov_b32 m0, s48                                          // 000000002FF4: BEFC0030
	v_mov_b32_e32 v1, 0xbfcc4231                               // 000000002FF8: 7E0202FF BFCC4231
	v_mov_b32_e32 v17, 0xffff0000                              // 000000003000: 7E2202FF FFFF0000
	v_mov_b32_e32 v18, 0x7fff0000                              // 000000003008: 7E2402FF 7FFF0000
	v_mov_b32_e32 v19, 0x7fff                                  // 000000003010: 7E2602FF 00007FFF
	s_waitcnt vmcnt(0) expcnt(0) lgkmcnt(0)                    // 000000003018: BF8C0000
	s_mul_i32 s60, s3, 48                                      // 00000000301C: 923CB003
	s_mul_i32 s60, 4, s60                                      // 000000003020: 923C3C84
	s_add_u32 s40, s60, s40                                    // 000000003024: 8028283C
	s_addc_u32 s41, 0, s41                                     // 000000003028: 82292980
	v_and_b32_e32 v4, 15, v0                                   // 00000000302C: 2608008F
	v_lshlrev_b32_e32 v4, 2, v4                                // 000000003030: 24080882
	buffer_load_dword v148, v4, s[40:43], 0 offen              // 000000003034: E0501000 800A9404
	buffer_load_dword v149, v4, s[40:43], 0 offen offset:64    // 00000000303C: E0501040 800A9504
	buffer_load_dword v150, v4, s[40:43], 0 offen offset:128   // 000000003044: E0501080 800A9604
	v_lshrrev_b32_e32 v4, 5, v0                                // 00000000304C: 20080085
	v_xor_b32_e32 v5, 1, v4                                    // 000000003050: 2A0A0881
	v_readlane_b32 s82, v3, 0                                  // 000000003054: D2890052 00010103
	s_and_b32 s82, s82, 0xffffff                               // 00000000305C: 8652FF52 00FFFFFF
	v_mul_lo_u32 v6, v5, s82                                   // 000000003064: D2850006 0000A505
	v_readlane_b32 s82, v3, 1                                  // 00000000306C: D2890052 00010303
	s_and_b32 s82, s82, 0xffffff                               // 000000003074: 8652FF52 00FFFFFF
	v_mul_lo_u32 v7, v4, s82                                   // 00000000307C: D2850007 0000A504
	v_add_u32_e32 v42, v6, v7                                  // 000000003084: 68540F06
	v_mul_lo_u32 v42, v42, s68                                 // 000000003088: D285002A 0000892A
	v_readlane_b32 s82, v3, 2                                  // 000000003090: D2890052 00010503
	s_and_b32 s82, s82, 0xffffff                               // 000000003098: 8652FF52 00FFFFFF
	v_mul_lo_u32 v6, v5, s82                                   // 0000000030A0: D2850006 0000A505
	v_readlane_b32 s82, v3, 3                                  // 0000000030A8: D2890052 00010703
	s_and_b32 s82, s82, 0xffffff                               // 0000000030B0: 8652FF52 00FFFFFF
	v_mul_lo_u32 v7, v4, s82                                   // 0000000030B8: D2850007 0000A504
	v_add_u32_e32 v43, v6, v7                                  // 0000000030C0: 68560F06
	v_mul_lo_u32 v43, v43, s68                                 // 0000000030C4: D285002B 0000892B
	v_readlane_b32 s82, v3, 4                                  // 0000000030CC: D2890052 00010903
	s_and_b32 s82, s82, 0xffffff                               // 0000000030D4: 8652FF52 00FFFFFF
	v_mul_lo_u32 v6, v5, s82                                   // 0000000030DC: D2850006 0000A505
	v_readlane_b32 s82, v3, 5                                  // 0000000030E4: D2890052 00010B03
	s_and_b32 s82, s82, 0xffffff                               // 0000000030EC: 8652FF52 00FFFFFF
	v_mul_lo_u32 v7, v4, s82                                   // 0000000030F4: D2850007 0000A504
	v_add_u32_e32 v44, v6, v7                                  // 0000000030FC: 68580F06
	v_mul_lo_u32 v44, v44, s68                                 // 000000003100: D285002C 0000892C
	v_readlane_b32 s82, v3, 6                                  // 000000003108: D2890052 00010D03
	s_and_b32 s82, s82, 0xffffff                               // 000000003110: 8652FF52 00FFFFFF
	v_mul_lo_u32 v6, v5, s82                                   // 000000003118: D2850006 0000A505
	v_readlane_b32 s82, v3, 7                                  // 000000003120: D2890052 00010F03
	s_and_b32 s82, s82, 0xffffff                               // 000000003128: 8652FF52 00FFFFFF
	v_mul_lo_u32 v7, v4, s82                                   // 000000003130: D2850007 0000A504
	v_add_u32_e32 v45, v6, v7                                  // 000000003138: 685A0F06
	v_mul_lo_u32 v45, v45, s68                                 // 00000000313C: D285002D 0000892D
	v_readlane_b32 s82, v3, 8                                  // 000000003144: D2890052 00011103
	s_and_b32 s82, s82, 0xffffff                               // 00000000314C: 8652FF52 00FFFFFF
	v_mul_lo_u32 v6, v5, s82                                   // 000000003154: D2850006 0000A505
	v_readlane_b32 s82, v3, 9                                  // 00000000315C: D2890052 00011303
	s_and_b32 s82, s82, 0xffffff                               // 000000003164: 8652FF52 00FFFFFF
	v_mul_lo_u32 v7, v4, s82                                   // 00000000316C: D2850007 0000A504
	v_add_u32_e32 v46, v6, v7                                  // 000000003174: 685C0F06
	v_mul_lo_u32 v46, v46, s68                                 // 000000003178: D285002E 0000892E
	v_readlane_b32 s82, v3, 10                                 // 000000003180: D2890052 00011503
	s_and_b32 s82, s82, 0xffffff                               // 000000003188: 8652FF52 00FFFFFF
	v_mul_lo_u32 v6, v5, s82                                   // 000000003190: D2850006 0000A505
	v_readlane_b32 s82, v3, 11                                 // 000000003198: D2890052 00011703
	s_and_b32 s82, s82, 0xffffff                               // 0000000031A0: 8652FF52 00FFFFFF
	v_mul_lo_u32 v7, v4, s82                                   // 0000000031A8: D2850007 0000A504
	v_add_u32_e32 v47, v6, v7                                  // 0000000031B0: 685E0F06
	v_mul_lo_u32 v47, v47, s68                                 // 0000000031B4: D285002F 0000892F
	v_and_b32_e32 v4, 31, v0                                   // 0000000031BC: 2608009F
	v_lshlrev_b32_e32 v4, 2, v4                                // 0000000031C0: 24080882
	v_add_u32_e32 v42, v42, v4                                 // 0000000031C4: 6854092A
	v_add_u32_e32 v43, v43, v4                                 // 0000000031C8: 6856092B
	v_add_u32_e32 v44, v44, v4                                 // 0000000031CC: 6858092C
	v_add_u32_e32 v45, v45, v4                                 // 0000000031D0: 685A092D
	v_add_u32_e32 v46, v46, v4                                 // 0000000031D4: 685C092E
	v_add_u32_e32 v47, v47, v4                                 // 0000000031D8: 685E092F
	v_and_b32_e32 v30, 0xffffff, v30                           // 0000000031DC: 263C3CFF 00FFFFFF
	v_lshlrev_b32_e32 v30, 2, v30                              // 0000000031E4: 243C3C82
	v_and_b32_e32 v31, 0xffffff, v31                           // 0000000031E8: 263E3EFF 00FFFFFF
	v_lshlrev_b32_e32 v31, 2, v31                              // 0000000031F0: 243E3E82
	v_and_b32_e32 v32, 0xffffff, v32                           // 0000000031F4: 264040FF 00FFFFFF
	v_lshlrev_b32_e32 v32, 2, v32                              // 0000000031FC: 24404082
	s_lshl_b32 s3, s66, 2                                      // 000000003200: 8E038242
	buffer_load_dword v33, v30, s[28:31], 0 offen              // 000000003204: E0501000 8007211E
	buffer_load_dword v34, v31, s[28:31], 0 offen              // 00000000320C: E0501000 8007221F
	buffer_load_dword v35, v32, s[28:31], 0 offen              // 000000003214: E0501000 80072320
	buffer_load_dword v24, v22, s[32:35], 0 offen              // 00000000321C: E0501000 80081816
	s_mul_i32 s60, 4, s65                                      // 000000003224: 923C4184
	s_add_u32 s32, s60, s32                                    // 000000003228: 8020203C
	s_addc_u32 s33, 0, s33                                     // 00000000322C: 82212180
	buffer_load_dword v27, v22, s[32:35], 0 offen              // 000000003230: E0501000 80081B16
	buffer_load_dword v42, s[20:23], 0 offen lds               // 000000003238: E0511000 8005002A
	s_add_u32 m0, 0x100, s48                                   // 000000003240: 807C30FF 00000100
	buffer_load_dword v43, s[20:23], 0 offen lds               // 000000003248: E0511000 8005002B
	s_add_u32 m0, 0x200, s48                                   // 000000003250: 807C30FF 00000200
	buffer_load_dword v44, s[20:23], 0 offen lds               // 000000003258: E0511000 8005002C
	s_add_u32 m0, 0x300, s48                                   // 000000003260: 807C30FF 00000300
	buffer_load_dword v45, s[20:23], 0 offen lds               // 000000003268: E0511000 8005002D
	s_add_u32 m0, 0x400, s48                                   // 000000003270: 807C30FF 00000400
	buffer_load_dword v46, s[20:23], 0 offen lds               // 000000003278: E0511000 8005002E
	s_add_u32 m0, 0x500, s48                                   // 000000003280: 807C30FF 00000500
	buffer_load_dword v47, s[20:23], 0 offen lds               // 000000003288: E0511000 8005002F
	s_add_u32 m0, 0, s49                                       // 000000003290: 807C3180
	s_add_u32 s20, s57, s20                                    // 000000003294: 80141439
	s_addc_u32 s21, 0, s21                                     // 000000003298: 82151580
	buffer_load_dwordx4 a[48:51], v48, s[24:27], 0 offen       // 00000000329C: E05C1000 80863030
	buffer_load_dwordx4 a[52:55], v48, s[24:27], 0 offen offset:1024// 0000000032A4: E05C1400 80863430
	buffer_load_dwordx4 a[56:59], v49, s[24:27], 0 offen       // 0000000032AC: E05C1000 80863831
	buffer_load_dwordx4 a[60:63], v49, s[24:27], 0 offen offset:1024// 0000000032B4: E05C1400 80863C31
	buffer_load_dwordx4 a[64:67], v50, s[24:27], 0 offen       // 0000000032BC: E05C1000 80864032
	buffer_load_dwordx4 a[68:71], v50, s[24:27], 0 offen offset:1024// 0000000032C4: E05C1400 80864432
	buffer_load_dwordx4 a[72:75], v51, s[24:27], 0 offen       // 0000000032CC: E05C1000 80864833
	buffer_load_dwordx4 a[76:79], v51, s[24:27], 0 offen offset:1024// 0000000032D4: E05C1400 80864C33
	s_add_u32 s24, s58, s24                                    // 0000000032DC: 8018183A
	s_addc_u32 s25, 0, s25                                     // 0000000032E0: 82191980
	buffer_load_dword v42, s[20:23], 0 offen lds               // 0000000032E4: E0511000 8005002A
	s_add_u32 m0, 0x100, s49                                   // 0000000032EC: 807C31FF 00000100
	buffer_load_dword v43, s[20:23], 0 offen lds               // 0000000032F4: E0511000 8005002B
	s_add_u32 m0, 0x200, s49                                   // 0000000032FC: 807C31FF 00000200
	buffer_load_dword v44, s[20:23], 0 offen lds               // 000000003304: E0511000 8005002C
	s_add_u32 m0, 0x300, s49                                   // 00000000330C: 807C31FF 00000300
	buffer_load_dword v45, s[20:23], 0 offen lds               // 000000003314: E0511000 8005002D
	s_add_u32 m0, 0x400, s49                                   // 00000000331C: 807C31FF 00000400
	buffer_load_dword v46, s[20:23], 0 offen lds               // 000000003324: E0511000 8005002E
	s_add_u32 m0, 0x500, s49                                   // 00000000332C: 807C31FF 00000500
	buffer_load_dword v47, s[20:23], 0 offen lds               // 000000003334: E0511000 8005002F
	s_add_u32 m0, 0, s50                                       // 00000000333C: 807C3280
	s_add_u32 s20, s57, s20                                    // 000000003340: 80141439
	s_addc_u32 s21, 0, s21                                     // 000000003344: 82151580
	buffer_load_dwordx4 a[80:83], v48, s[84:87], 0 offen       // 000000003348: E05C1000 80955030
	buffer_load_dwordx4 a[84:87], v48, s[84:87], 0 offen offset:1024// 000000003350: E05C1400 80955430
	buffer_load_dwordx4 a[88:91], v49, s[84:87], 0 offen       // 000000003358: E05C1000 80955831
	buffer_load_dwordx4 a[92:95], v49, s[84:87], 0 offen offset:1024// 000000003360: E05C1400 80955C31
	buffer_load_dwordx4 a[96:99], v50, s[84:87], 0 offen       // 000000003368: E05C1000 80956032
	buffer_load_dwordx4 a[100:103], v50, s[84:87], 0 offen offset:1024// 000000003370: E05C1400 80956432
	buffer_load_dwordx4 a[104:107], v51, s[84:87], 0 offen     // 000000003378: E05C1000 80956833
	buffer_load_dwordx4 a[108:111], v51, s[84:87], 0 offen offset:1024// 000000003380: E05C1400 80956C33
	s_add_u32 s84, s83, s84                                    // 000000003388: 80545453
	s_addc_u32 s85, 0, s85                                     // 00000000338C: 82555580
	s_waitcnt vmcnt(22)                                        // 000000003390: BF8C4F76
	s_barrier                                                  // 000000003394: BF8A0000
	ds_read_b128 a[0:3], v2                                    // 000000003398: DBFE0000 00000002
	ds_read_b128 a[4:7], v2 offset:64                          // 0000000033A0: DBFE0040 04000002
	ds_read_b128 a[8:11], v2 offset:512                        // 0000000033A8: DBFE0200 08000002
	ds_read_b128 a[12:15], v2 offset:576                       // 0000000033B0: DBFE0240 0C000002
	ds_read_b128 a[16:19], v2 offset:1024                      // 0000000033B8: DBFE0400 10000002
	ds_read_b128 a[20:23], v2 offset:1088                      // 0000000033C0: DBFE0440 14000002
	s_cmp_lt_i32 s7, 2                                         // 0000000033C8: BF048207
	s_cbranch_scc0 label_1480                                  // 0000000033CC: BF841209

00000000000033d0 <label_0274>:
	s_waitcnt vmcnt(14) lgkmcnt(0)                             // 0000000033D0: BF8C007E
	v_mfma_f32_16x16x32_fp8_fp8 v[52:55], a[48:49], a[0:1], v[52:55]// 0000000033D4: D3F30034 1CD20130
	v_mfma_f32_16x16x32_fp8_fp8 v[52:55], a[50:51], a[2:3], v[52:55]// 0000000033DC: D3F30034 1CD20532
	buffer_load_dwordx4 a[112:115], v48, s[24:27], 0 offen     // 0000000033E4: E05C1000 80867030
	v_mfma_f32_16x16x32_fp8_fp8 v[52:55], a[52:53], a[4:5], v[52:55]// 0000000033EC: D3F30034 1CD20934
	v_mfma_f32_16x16x32_fp8_fp8 v[52:55], a[54:55], a[6:7], v[52:55]// 0000000033F4: D3F30034 1CD20D36
	v_mfma_f32_16x16x32_fp8_fp8 v[64:67], a[56:57], a[0:1], v[64:67]// 0000000033FC: D3F30040 1D020138
	v_mfma_f32_16x16x32_fp8_fp8 v[64:67], a[58:59], a[2:3], v[64:67]// 000000003404: D3F30040 1D02053A
	buffer_load_dwordx4 a[116:119], v48, s[24:27], 0 offen offset:1024// 00000000340C: E05C1400 80867430
	v_mfma_f32_16x16x32_fp8_fp8 v[64:67], a[60:61], a[4:5], v[64:67]// 000000003414: D3F30040 1D02093C
	v_mfma_f32_16x16x32_fp8_fp8 v[64:67], a[62:63], a[6:7], v[64:67]// 00000000341C: D3F30040 1D020D3E
	v_mfma_f32_16x16x32_fp8_fp8 v[76:79], a[64:65], a[0:1], v[76:79]// 000000003424: D3F3004C 1D320140
	v_mfma_f32_16x16x32_fp8_fp8 v[76:79], a[66:67], a[2:3], v[76:79]// 00000000342C: D3F3004C 1D320542
	buffer_load_dwordx4 a[120:123], v49, s[24:27], 0 offen     // 000000003434: E05C1000 80867831
	v_mfma_f32_16x16x32_fp8_fp8 v[76:79], a[68:69], a[4:5], v[76:79]// 00000000343C: D3F3004C 1D320944
	v_mfma_f32_16x16x32_fp8_fp8 v[76:79], a[70:71], a[6:7], v[76:79]// 000000003444: D3F3004C 1D320D46
	v_mfma_f32_16x16x32_fp8_fp8 v[88:91], a[72:73], a[0:1], v[88:91]// 00000000344C: D3F30058 1D620148
	v_mfma_f32_16x16x32_fp8_fp8 v[88:91], a[74:75], a[2:3], v[88:91]// 000000003454: D3F30058 1D62054A
	buffer_load_dwordx4 a[124:127], v49, s[24:27], 0 offen offset:1024// 00000000345C: E05C1400 80867C31
	v_mfma_f32_16x16x32_fp8_fp8 v[88:91], a[76:77], a[4:5], v[88:91]// 000000003464: D3F30058 1D62094C
	v_mfma_f32_16x16x32_fp8_fp8 v[88:91], a[78:79], a[6:7], v[88:91]// 00000000346C: D3F30058 1D620D4E
	v_mfma_f32_16x16x32_fp8_fp8 v[56:59], a[48:49], a[8:9], v[56:59]// 000000003474: D3F30038 1CE21130
	v_mfma_f32_16x16x32_fp8_fp8 v[56:59], a[50:51], a[10:11], v[56:59]// 00000000347C: D3F30038 1CE21532
	buffer_load_dwordx4 a[128:131], v50, s[24:27], 0 offen     // 000000003484: E05C1000 80868032
	v_mfma_f32_16x16x32_fp8_fp8 v[56:59], a[52:53], a[12:13], v[56:59]// 00000000348C: D3F30038 1CE21934
	v_mfma_f32_16x16x32_fp8_fp8 v[56:59], a[54:55], a[14:15], v[56:59]// 000000003494: D3F30038 1CE21D36
	v_mfma_f32_16x16x32_fp8_fp8 v[68:71], a[56:57], a[8:9], v[68:71]// 00000000349C: D3F30044 1D121138
	v_mfma_f32_16x16x32_fp8_fp8 v[68:71], a[58:59], a[10:11], v[68:71]// 0000000034A4: D3F30044 1D12153A
	buffer_load_dwordx4 a[132:135], v50, s[24:27], 0 offen offset:1024// 0000000034AC: E05C1400 80868432
	v_mfma_f32_16x16x32_fp8_fp8 v[68:71], a[60:61], a[12:13], v[68:71]// 0000000034B4: D3F30044 1D12193C
	v_mfma_f32_16x16x32_fp8_fp8 v[68:71], a[62:63], a[14:15], v[68:71]// 0000000034BC: D3F30044 1D121D3E
	v_mfma_f32_16x16x32_fp8_fp8 v[80:83], a[64:65], a[8:9], v[80:83]// 0000000034C4: D3F30050 1D421140
	v_mfma_f32_16x16x32_fp8_fp8 v[80:83], a[66:67], a[10:11], v[80:83]// 0000000034CC: D3F30050 1D421542
	buffer_load_dwordx4 a[136:139], v51, s[24:27], 0 offen     // 0000000034D4: E05C1000 80868833
	v_mfma_f32_16x16x32_fp8_fp8 v[80:83], a[68:69], a[12:13], v[80:83]// 0000000034DC: D3F30050 1D421944
	v_mfma_f32_16x16x32_fp8_fp8 v[80:83], a[70:71], a[14:15], v[80:83]// 0000000034E4: D3F30050 1D421D46
	v_mfma_f32_16x16x32_fp8_fp8 v[92:95], a[72:73], a[8:9], v[92:95]// 0000000034EC: D3F3005C 1D721148
	v_mfma_f32_16x16x32_fp8_fp8 v[92:95], a[74:75], a[10:11], v[92:95]// 0000000034F4: D3F3005C 1D72154A
	buffer_load_dwordx4 a[140:143], v51, s[24:27], 0 offen offset:1024// 0000000034FC: E05C1400 80868C33
	buffer_load_dword v42, s[20:23], 0 offen lds               // 000000003504: E0511000 8005002A
	s_add_u32 m0, 0x100, s50                                   // 00000000350C: 807C32FF 00000100
	v_mfma_f32_16x16x32_fp8_fp8 v[92:95], a[76:77], a[12:13], v[92:95]// 000000003514: D3F3005C 1D72194C
	v_mfma_f32_16x16x32_fp8_fp8 v[92:95], a[78:79], a[14:15], v[92:95]// 00000000351C: D3F3005C 1D721D4E
	buffer_load_dword v43, s[20:23], 0 offen lds               // 000000003524: E0511000 8005002B
	s_add_u32 m0, 0x200, s50                                   // 00000000352C: 807C32FF 00000200
	v_mfma_f32_16x16x32_fp8_fp8 v[60:63], a[48:49], a[16:17], v[60:63]// 000000003534: D3F3003C 1CF22130
	v_mfma_f32_16x16x32_fp8_fp8 v[60:63], a[50:51], a[18:19], v[60:63]// 00000000353C: D3F3003C 1CF22532
	buffer_load_dword v44, s[20:23], 0 offen lds               // 000000003544: E0511000 8005002C
	s_add_u32 m0, 0x300, s50                                   // 00000000354C: 807C32FF 00000300
	v_mfma_f32_16x16x32_fp8_fp8 v[60:63], a[52:53], a[20:21], v[60:63]// 000000003554: D3F3003C 1CF22934
	v_mfma_f32_16x16x32_fp8_fp8 v[60:63], a[54:55], a[22:23], v[60:63]// 00000000355C: D3F3003C 1CF22D36
	buffer_load_dword v45, s[20:23], 0 offen lds               // 000000003564: E0511000 8005002D
	s_add_u32 m0, 0x400, s50                                   // 00000000356C: 807C32FF 00000400
	v_mfma_f32_16x16x32_fp8_fp8 v[72:75], a[56:57], a[16:17], v[72:75]// 000000003574: D3F30048 1D222138
	v_mfma_f32_16x16x32_fp8_fp8 v[72:75], a[58:59], a[18:19], v[72:75]// 00000000357C: D3F30048 1D22253A
	buffer_load_dword v46, s[20:23], 0 offen lds               // 000000003584: E0511000 8005002E
	s_add_u32 m0, 0x500, s50                                   // 00000000358C: 807C32FF 00000500
	v_mfma_f32_16x16x32_fp8_fp8 v[72:75], a[60:61], a[20:21], v[72:75]// 000000003594: D3F30048 1D22293C
	v_mfma_f32_16x16x32_fp8_fp8 v[72:75], a[62:63], a[22:23], v[72:75]// 00000000359C: D3F30048 1D222D3E
	buffer_load_dword v47, s[20:23], 0 offen lds               // 0000000035A4: E0511000 8005002F
	s_add_u32 m0, 0, s48                                       // 0000000035AC: 807C3080
	v_mfma_f32_16x16x32_fp8_fp8 v[84:87], a[64:65], a[16:17], v[84:87]// 0000000035B0: D3F30054 1D522140
	v_mfma_f32_16x16x32_fp8_fp8 v[84:87], a[66:67], a[18:19], v[84:87]// 0000000035B8: D3F30054 1D522542
	v_mfma_f32_16x16x32_fp8_fp8 v[84:87], a[68:69], a[20:21], v[84:87]// 0000000035C0: D3F30054 1D522944
	v_mfma_f32_16x16x32_fp8_fp8 v[84:87], a[70:71], a[22:23], v[84:87]// 0000000035C8: D3F30054 1D522D46
	v_mfma_f32_16x16x32_fp8_fp8 v[96:99], a[72:73], a[16:17], v[96:99]// 0000000035D0: D3F30060 1D822148
	v_mfma_f32_16x16x32_fp8_fp8 v[96:99], a[74:75], a[18:19], v[96:99]// 0000000035D8: D3F30060 1D82254A
	v_mfma_f32_16x16x32_fp8_fp8 v[96:99], a[76:77], a[20:21], v[96:99]// 0000000035E0: D3F30060 1D82294C
	v_mfma_f32_16x16x32_fp8_fp8 v[96:99], a[78:79], a[22:23], v[96:99]// 0000000035E8: D3F30060 1D822D4E
	s_waitcnt vmcnt(14)                                        // 0000000035F0: BF8C0F7E
	s_barrier                                                  // 0000000035F4: BF8A0000
	v_mfma_f32_16x16x32_fp8_fp8 v[100:103], a[80:81], a[0:1], v[100:103]// 0000000035F8: D3F30064 1D920150
	v_mfma_f32_16x16x32_fp8_fp8 v[100:103], a[82:83], a[2:3], v[100:103]// 000000003600: D3F30064 1D920552
	buffer_load_dwordx4 a[48:51], v48, s[84:87], 0 offen       // 000000003608: E05C1000 80953030
	v_mfma_f32_16x16x32_fp8_fp8 v[100:103], a[84:85], a[4:5], v[100:103]// 000000003610: D3F30064 1D920954
	v_mfma_f32_16x16x32_fp8_fp8 v[100:103], a[86:87], a[6:7], v[100:103]// 000000003618: D3F30064 1D920D56
	ds_read_b128 a[24:27], v2 offset:6272                      // 000000003620: DBFE1880 18000002
	ds_read_b128 a[28:31], v2 offset:6336                      // 000000003628: DBFE18C0 1C000002
	v_mfma_f32_16x16x32_fp8_fp8 v[112:115], a[88:89], a[0:1], v[112:115]// 000000003630: D3F30070 1DC20158
	v_mfma_f32_16x16x32_fp8_fp8 v[112:115], a[90:91], a[2:3], v[112:115]// 000000003638: D3F30070 1DC2055A
	buffer_load_dwordx4 a[52:55], v48, s[84:87], 0 offen offset:1024// 000000003640: E05C1400 80953430
	v_mfma_f32_16x16x32_fp8_fp8 v[112:115], a[92:93], a[4:5], v[112:115]// 000000003648: D3F30070 1DC2095C
	v_mfma_f32_16x16x32_fp8_fp8 v[112:115], a[94:95], a[6:7], v[112:115]// 000000003650: D3F30070 1DC20D5E
	ds_read_b128 a[32:35], v2 offset:6784                      // 000000003658: DBFE1A80 20000002
	ds_read_b128 a[36:39], v2 offset:6848                      // 000000003660: DBFE1AC0 24000002
	v_mfma_f32_16x16x32_fp8_fp8 v[124:127], a[96:97], a[0:1], v[124:127]// 000000003668: D3F3007C 1DF20160
	v_mfma_f32_16x16x32_fp8_fp8 v[124:127], a[98:99], a[2:3], v[124:127]// 000000003670: D3F3007C 1DF20562
	buffer_load_dwordx4 a[56:59], v49, s[84:87], 0 offen       // 000000003678: E05C1000 80953831
	v_mfma_f32_16x16x32_fp8_fp8 v[124:127], a[100:101], a[4:5], v[124:127]// 000000003680: D3F3007C 1DF20964
	v_mfma_f32_16x16x32_fp8_fp8 v[124:127], a[102:103], a[6:7], v[124:127]// 000000003688: D3F3007C 1DF20D66
	ds_read_b128 a[40:43], v2 offset:7296                      // 000000003690: DBFE1C80 28000002
	ds_read_b128 a[44:47], v2 offset:7360                      // 000000003698: DBFE1CC0 2C000002
	v_mfma_f32_16x16x32_fp8_fp8 v[136:139], a[104:105], a[0:1], v[136:139]// 0000000036A0: D3F30088 1E220168
	v_mfma_f32_16x16x32_fp8_fp8 v[136:139], a[106:107], a[2:3], v[136:139]// 0000000036A8: D3F30088 1E22056A
	buffer_load_dwordx4 a[60:63], v49, s[84:87], 0 offen offset:1024// 0000000036B0: E05C1400 80953C31
	v_mfma_f32_16x16x32_fp8_fp8 v[136:139], a[108:109], a[4:5], v[136:139]// 0000000036B8: D3F30088 1E22096C
	v_mfma_f32_16x16x32_fp8_fp8 v[136:139], a[110:111], a[6:7], v[136:139]// 0000000036C0: D3F30088 1E220D6E
	v_mfma_f32_16x16x32_fp8_fp8 v[104:107], a[80:81], a[8:9], v[104:107]// 0000000036C8: D3F30068 1DA21150
	v_mfma_f32_16x16x32_fp8_fp8 v[104:107], a[82:83], a[10:11], v[104:107]// 0000000036D0: D3F30068 1DA21552
	buffer_load_dwordx4 a[64:67], v50, s[84:87], 0 offen       // 0000000036D8: E05C1000 80954032
	v_mfma_f32_16x16x32_fp8_fp8 v[104:107], a[84:85], a[12:13], v[104:107]// 0000000036E0: D3F30068 1DA21954
	v_mfma_f32_16x16x32_fp8_fp8 v[104:107], a[86:87], a[14:15], v[104:107]// 0000000036E8: D3F30068 1DA21D56
	v_mfma_f32_16x16x32_fp8_fp8 v[116:119], a[88:89], a[8:9], v[116:119]// 0000000036F0: D3F30074 1DD21158
	v_mfma_f32_16x16x32_fp8_fp8 v[116:119], a[90:91], a[10:11], v[116:119]// 0000000036F8: D3F30074 1DD2155A
	buffer_load_dwordx4 a[68:71], v50, s[84:87], 0 offen offset:1024// 000000003700: E05C1400 80954432
	v_mfma_f32_16x16x32_fp8_fp8 v[116:119], a[92:93], a[12:13], v[116:119]// 000000003708: D3F30074 1DD2195C
	v_mfma_f32_16x16x32_fp8_fp8 v[116:119], a[94:95], a[14:15], v[116:119]// 000000003710: D3F30074 1DD21D5E
	v_mfma_f32_16x16x32_fp8_fp8 v[128:131], a[96:97], a[8:9], v[128:131]// 000000003718: D3F30080 1E021160
	v_mfma_f32_16x16x32_fp8_fp8 v[128:131], a[98:99], a[10:11], v[128:131]// 000000003720: D3F30080 1E021562
	buffer_load_dwordx4 a[72:75], v51, s[84:87], 0 offen       // 000000003728: E05C1000 80954833
	v_mfma_f32_16x16x32_fp8_fp8 v[128:131], a[100:101], a[12:13], v[128:131]// 000000003730: D3F30080 1E021964
	v_mfma_f32_16x16x32_fp8_fp8 v[128:131], a[102:103], a[14:15], v[128:131]// 000000003738: D3F30080 1E021D66
	v_mfma_f32_16x16x32_fp8_fp8 v[140:143], a[104:105], a[8:9], v[140:143]// 000000003740: D3F3008C 1E321168
	v_mfma_f32_16x16x32_fp8_fp8 v[140:143], a[106:107], a[10:11], v[140:143]// 000000003748: D3F3008C 1E32156A
	buffer_load_dwordx4 a[76:79], v51, s[84:87], 0 offen offset:1024// 000000003750: E05C1400 80954C33
	v_mfma_f32_16x16x32_fp8_fp8 v[140:143], a[108:109], a[12:13], v[140:143]// 000000003758: D3F3008C 1E32196C
	v_mfma_f32_16x16x32_fp8_fp8 v[140:143], a[110:111], a[14:15], v[140:143]// 000000003760: D3F3008C 1E321D6E
	v_mfma_f32_16x16x32_fp8_fp8 v[108:111], a[80:81], a[16:17], v[108:111]// 000000003768: D3F3006C 1DB22150
	v_mfma_f32_16x16x32_fp8_fp8 v[108:111], a[82:83], a[18:19], v[108:111]// 000000003770: D3F3006C 1DB22552
	v_mfma_f32_16x16x32_fp8_fp8 v[108:111], a[84:85], a[20:21], v[108:111]// 000000003778: D3F3006C 1DB22954
	v_mfma_f32_16x16x32_fp8_fp8 v[108:111], a[86:87], a[22:23], v[108:111]// 000000003780: D3F3006C 1DB22D56
	v_mfma_f32_16x16x32_fp8_fp8 v[120:123], a[88:89], a[16:17], v[120:123]// 000000003788: D3F30078 1DE22158
	v_mfma_f32_16x16x32_fp8_fp8 v[120:123], a[90:91], a[18:19], v[120:123]// 000000003790: D3F30078 1DE2255A
	v_mfma_f32_16x16x32_fp8_fp8 v[120:123], a[92:93], a[20:21], v[120:123]// 000000003798: D3F30078 1DE2295C
	v_mfma_f32_16x16x32_fp8_fp8 v[120:123], a[94:95], a[22:23], v[120:123]// 0000000037A0: D3F30078 1DE22D5E
	v_mfma_f32_16x16x32_fp8_fp8 v[132:135], a[96:97], a[16:17], v[132:135]// 0000000037A8: D3F30084 1E122160
	s_add_u32 s60, 0x180, s80                                  // 0000000037B0: 803C50FF 00000180
	s_cmp_lt_u32 s60, s81                                      // 0000000037B8: BF0A513C
	s_cselect_b32 s57, s57, 0                                  // 0000000037BC: 85398039
	v_mfma_f32_16x16x32_fp8_fp8 v[132:135], a[98:99], a[18:19], v[132:135]// 0000000037C0: D3F30084 1E122562
	s_add_u32 s60, 0x100, s80                                  // 0000000037C8: 803C50FF 00000100
	s_cmp_lt_u32 s60, s81                                      // 0000000037D0: BF0A513C
	s_cselect_b32 s58, s58, 0                                  // 0000000037D4: 853A803A
	v_mfma_f32_16x16x32_fp8_fp8 v[132:135], a[100:101], a[20:21], v[132:135]// 0000000037D8: D3F30084 1E122964
	s_add_u32 s60, 0x100, s80                                  // 0000000037E0: 803C50FF 00000100
	s_cmp_lt_u32 s60, s81                                      // 0000000037E8: BF0A513C
	s_cselect_b32 s83, s83, 0                                  // 0000000037EC: 85538053
	v_mfma_f32_16x16x32_fp8_fp8 v[132:135], a[102:103], a[22:23], v[132:135]// 0000000037F0: D3F30084 1E122D66
	s_add_u32 s24, s58, s24                                    // 0000000037F8: 8018183A
	s_addc_u32 s25, 0, s25                                     // 0000000037FC: 82191980
	v_mfma_f32_16x16x32_fp8_fp8 v[144:147], a[104:105], a[16:17], v[144:147]// 000000003800: D3F30090 1E422168
	s_add_u32 s20, s57, s20                                    // 000000003808: 80141439
	s_addc_u32 s21, 0, s21                                     // 00000000380C: 82151580
	v_mfma_f32_16x16x32_fp8_fp8 v[144:147], a[106:107], a[18:19], v[144:147]// 000000003810: D3F30090 1E42256A
	s_add_u32 s84, s83, s84                                    // 000000003818: 80545453
	s_addc_u32 s85, 0, s85                                     // 00000000381C: 82555580
	v_mfma_f32_16x16x32_fp8_fp8 v[144:147], a[108:109], a[20:21], v[144:147]// 000000003820: D3F30090 1E42296C
	v_mfma_f32_16x16x32_fp8_fp8 v[144:147], a[110:111], a[22:23], v[144:147]// 000000003828: D3F30090 1E422D6E
	s_addk_i32 s80, 0x80                                       // 000000003830: B7500080
	s_cmp_lt_i32 s80, s81                                      // 000000003834: BF045150
	s_cbranch_scc0 label_0917                                  // 000000003838: BF840588
	s_waitcnt vmcnt(14) lgkmcnt(0)                             // 00000000383C: BF8C007E
	v_mfma_f32_16x16x32_fp8_fp8 v[52:55], a[112:113], a[24:25], v[52:55]// 000000003840: D3F30034 1CD23170
	v_mfma_f32_16x16x32_fp8_fp8 v[52:55], a[114:115], a[26:27], v[52:55]// 000000003848: D3F30034 1CD23572
	buffer_load_dwordx4 a[80:83], v48, s[24:27], 0 offen       // 000000003850: E05C1000 80865030
	v_mfma_f32_16x16x32_fp8_fp8 v[52:55], a[116:117], a[28:29], v[52:55]// 000000003858: D3F30034 1CD23974
	v_mfma_f32_16x16x32_fp8_fp8 v[52:55], a[118:119], a[30:31], v[52:55]// 000000003860: D3F30034 1CD23D76
	v_mfma_f32_16x16x32_fp8_fp8 v[64:67], a[120:121], a[24:25], v[64:67]// 000000003868: D3F30040 1D023178
	v_mfma_f32_16x16x32_fp8_fp8 v[64:67], a[122:123], a[26:27], v[64:67]// 000000003870: D3F30040 1D02357A
	buffer_load_dwordx4 a[84:87], v48, s[24:27], 0 offen offset:1024// 000000003878: E05C1400 80865430
	v_mfma_f32_16x16x32_fp8_fp8 v[64:67], a[124:125], a[28:29], v[64:67]// 000000003880: D3F30040 1D02397C
	v_mfma_f32_16x16x32_fp8_fp8 v[64:67], a[126:127], a[30:31], v[64:67]// 000000003888: D3F30040 1D023D7E
	v_mfma_f32_16x16x32_fp8_fp8 v[76:79], a[128:129], a[24:25], v[76:79]// 000000003890: D3F3004C 1D323180
	v_mfma_f32_16x16x32_fp8_fp8 v[76:79], a[130:131], a[26:27], v[76:79]// 000000003898: D3F3004C 1D323582
	buffer_load_dwordx4 a[88:91], v49, s[24:27], 0 offen       // 0000000038A0: E05C1000 80865831
	v_mfma_f32_16x16x32_fp8_fp8 v[76:79], a[132:133], a[28:29], v[76:79]// 0000000038A8: D3F3004C 1D323984
	v_mfma_f32_16x16x32_fp8_fp8 v[76:79], a[134:135], a[30:31], v[76:79]// 0000000038B0: D3F3004C 1D323D86
	v_mfma_f32_16x16x32_fp8_fp8 v[88:91], a[136:137], a[24:25], v[88:91]// 0000000038B8: D3F30058 1D623188
	v_mfma_f32_16x16x32_fp8_fp8 v[88:91], a[138:139], a[26:27], v[88:91]// 0000000038C0: D3F30058 1D62358A
	buffer_load_dwordx4 a[92:95], v49, s[24:27], 0 offen offset:1024// 0000000038C8: E05C1400 80865C31
	v_mfma_f32_16x16x32_fp8_fp8 v[88:91], a[140:141], a[28:29], v[88:91]// 0000000038D0: D3F30058 1D62398C
	v_mfma_f32_16x16x32_fp8_fp8 v[88:91], a[142:143], a[30:31], v[88:91]// 0000000038D8: D3F30058 1D623D8E
	v_mfma_f32_16x16x32_fp8_fp8 v[56:59], a[112:113], a[32:33], v[56:59]// 0000000038E0: D3F30038 1CE24170
	v_mfma_f32_16x16x32_fp8_fp8 v[56:59], a[114:115], a[34:35], v[56:59]// 0000000038E8: D3F30038 1CE24572
	buffer_load_dwordx4 a[96:99], v50, s[24:27], 0 offen       // 0000000038F0: E05C1000 80866032
	v_mfma_f32_16x16x32_fp8_fp8 v[56:59], a[116:117], a[36:37], v[56:59]// 0000000038F8: D3F30038 1CE24974
	v_mfma_f32_16x16x32_fp8_fp8 v[56:59], a[118:119], a[38:39], v[56:59]// 000000003900: D3F30038 1CE24D76
	v_mfma_f32_16x16x32_fp8_fp8 v[68:71], a[120:121], a[32:33], v[68:71]// 000000003908: D3F30044 1D124178
	v_mfma_f32_16x16x32_fp8_fp8 v[68:71], a[122:123], a[34:35], v[68:71]// 000000003910: D3F30044 1D12457A
	buffer_load_dwordx4 a[100:103], v50, s[24:27], 0 offen offset:1024// 000000003918: E05C1400 80866432
	v_mfma_f32_16x16x32_fp8_fp8 v[68:71], a[124:125], a[36:37], v[68:71]// 000000003920: D3F30044 1D12497C
	v_mfma_f32_16x16x32_fp8_fp8 v[68:71], a[126:127], a[38:39], v[68:71]// 000000003928: D3F30044 1D124D7E
	v_mfma_f32_16x16x32_fp8_fp8 v[80:83], a[128:129], a[32:33], v[80:83]// 000000003930: D3F30050 1D424180
	v_mfma_f32_16x16x32_fp8_fp8 v[80:83], a[130:131], a[34:35], v[80:83]// 000000003938: D3F30050 1D424582
	buffer_load_dwordx4 a[104:107], v51, s[24:27], 0 offen     // 000000003940: E05C1000 80866833
	v_mfma_f32_16x16x32_fp8_fp8 v[80:83], a[132:133], a[36:37], v[80:83]// 000000003948: D3F30050 1D424984
	v_mfma_f32_16x16x32_fp8_fp8 v[80:83], a[134:135], a[38:39], v[80:83]// 000000003950: D3F30050 1D424D86
	v_mfma_f32_16x16x32_fp8_fp8 v[92:95], a[136:137], a[32:33], v[92:95]// 000000003958: D3F3005C 1D724188
	v_mfma_f32_16x16x32_fp8_fp8 v[92:95], a[138:139], a[34:35], v[92:95]// 000000003960: D3F3005C 1D72458A
	buffer_load_dwordx4 a[108:111], v51, s[24:27], 0 offen offset:1024// 000000003968: E05C1400 80866C33
	buffer_load_dword v42, s[20:23], 0 offen lds               // 000000003970: E0511000 8005002A
	s_add_u32 m0, 0x100, s48                                   // 000000003978: 807C30FF 00000100
	v_mfma_f32_16x16x32_fp8_fp8 v[92:95], a[140:141], a[36:37], v[92:95]// 000000003980: D3F3005C 1D72498C
	v_mfma_f32_16x16x32_fp8_fp8 v[92:95], a[142:143], a[38:39], v[92:95]// 000000003988: D3F3005C 1D724D8E
	buffer_load_dword v43, s[20:23], 0 offen lds               // 000000003990: E0511000 8005002B
	s_add_u32 m0, 0x200, s48                                   // 000000003998: 807C30FF 00000200
	v_mfma_f32_16x16x32_fp8_fp8 v[60:63], a[112:113], a[40:41], v[60:63]// 0000000039A0: D3F3003C 1CF25170
	v_mfma_f32_16x16x32_fp8_fp8 v[60:63], a[114:115], a[42:43], v[60:63]// 0000000039A8: D3F3003C 1CF25572
	buffer_load_dword v44, s[20:23], 0 offen lds               // 0000000039B0: E0511000 8005002C
	s_add_u32 m0, 0x300, s48                                   // 0000000039B8: 807C30FF 00000300
	v_mfma_f32_16x16x32_fp8_fp8 v[60:63], a[116:117], a[44:45], v[60:63]// 0000000039C0: D3F3003C 1CF25974
	v_mfma_f32_16x16x32_fp8_fp8 v[60:63], a[118:119], a[46:47], v[60:63]// 0000000039C8: D3F3003C 1CF25D76
	buffer_load_dword v45, s[20:23], 0 offen lds               // 0000000039D0: E0511000 8005002D
	s_add_u32 m0, 0x400, s48                                   // 0000000039D8: 807C30FF 00000400
	v_mfma_f32_16x16x32_fp8_fp8 v[72:75], a[120:121], a[40:41], v[72:75]// 0000000039E0: D3F30048 1D225178
	v_mfma_f32_16x16x32_fp8_fp8 v[72:75], a[122:123], a[42:43], v[72:75]// 0000000039E8: D3F30048 1D22557A
	buffer_load_dword v46, s[20:23], 0 offen lds               // 0000000039F0: E0511000 8005002E
	s_add_u32 m0, 0x500, s48                                   // 0000000039F8: 807C30FF 00000500
	v_mfma_f32_16x16x32_fp8_fp8 v[72:75], a[124:125], a[44:45], v[72:75]// 000000003A00: D3F30048 1D22597C
	v_mfma_f32_16x16x32_fp8_fp8 v[72:75], a[126:127], a[46:47], v[72:75]// 000000003A08: D3F30048 1D225D7E
	buffer_load_dword v47, s[20:23], 0 offen lds               // 000000003A10: E0511000 8005002F
	s_add_u32 m0, 0, s49                                       // 000000003A18: 807C3180
	v_mfma_f32_16x16x32_fp8_fp8 v[84:87], a[128:129], a[40:41], v[84:87]// 000000003A1C: D3F30054 1D525180
	v_mfma_f32_16x16x32_fp8_fp8 v[84:87], a[130:131], a[42:43], v[84:87]// 000000003A24: D3F30054 1D525582
	v_mfma_f32_16x16x32_fp8_fp8 v[84:87], a[132:133], a[44:45], v[84:87]// 000000003A2C: D3F30054 1D525984
	v_mfma_f32_16x16x32_fp8_fp8 v[84:87], a[134:135], a[46:47], v[84:87]// 000000003A34: D3F30054 1D525D86
	v_mfma_f32_16x16x32_fp8_fp8 v[96:99], a[136:137], a[40:41], v[96:99]// 000000003A3C: D3F30060 1D825188
	v_mfma_f32_16x16x32_fp8_fp8 v[96:99], a[138:139], a[42:43], v[96:99]// 000000003A44: D3F30060 1D82558A
	v_mfma_f32_16x16x32_fp8_fp8 v[96:99], a[140:141], a[44:45], v[96:99]// 000000003A4C: D3F30060 1D82598C
	v_mfma_f32_16x16x32_fp8_fp8 v[96:99], a[142:143], a[46:47], v[96:99]// 000000003A54: D3F30060 1D825D8E
	s_waitcnt vmcnt(14)                                        // 000000003A5C: BF8C0F7E
	s_barrier                                                  // 000000003A60: BF8A0000
	v_mfma_f32_16x16x32_fp8_fp8 v[100:103], a[48:49], a[24:25], v[100:103]// 000000003A64: D3F30064 1D923130
	v_mfma_f32_16x16x32_fp8_fp8 v[100:103], a[50:51], a[26:27], v[100:103]// 000000003A6C: D3F30064 1D923532
	buffer_load_dwordx4 a[112:115], v48, s[84:87], 0 offen     // 000000003A74: E05C1000 80957030
	v_mfma_f32_16x16x32_fp8_fp8 v[100:103], a[52:53], a[28:29], v[100:103]// 000000003A7C: D3F30064 1D923934
	v_mfma_f32_16x16x32_fp8_fp8 v[100:103], a[54:55], a[30:31], v[100:103]// 000000003A84: D3F30064 1D923D36
	ds_read_b128 a[0:3], v2 offset:12544                       // 000000003A8C: DBFE3100 00000002
	ds_read_b128 a[4:7], v2 offset:12608                       // 000000003A94: DBFE3140 04000002
	v_mfma_f32_16x16x32_fp8_fp8 v[112:115], a[56:57], a[24:25], v[112:115]// 000000003A9C: D3F30070 1DC23138
	v_mfma_f32_16x16x32_fp8_fp8 v[112:115], a[58:59], a[26:27], v[112:115]// 000000003AA4: D3F30070 1DC2353A
	buffer_load_dwordx4 a[116:119], v48, s[84:87], 0 offen offset:1024// 000000003AAC: E05C1400 80957430
	v_mfma_f32_16x16x32_fp8_fp8 v[112:115], a[60:61], a[28:29], v[112:115]// 000000003AB4: D3F30070 1DC2393C
	v_mfma_f32_16x16x32_fp8_fp8 v[112:115], a[62:63], a[30:31], v[112:115]// 000000003ABC: D3F30070 1DC23D3E
	ds_read_b128 a[8:11], v2 offset:13056                      // 000000003AC4: DBFE3300 08000002
	ds_read_b128 a[12:15], v2 offset:13120                     // 000000003ACC: DBFE3340 0C000002
	v_mfma_f32_16x16x32_fp8_fp8 v[124:127], a[64:65], a[24:25], v[124:127]// 000000003AD4: D3F3007C 1DF23140
	v_mfma_f32_16x16x32_fp8_fp8 v[124:127], a[66:67], a[26:27], v[124:127]// 000000003ADC: D3F3007C 1DF23542
	buffer_load_dwordx4 a[120:123], v49, s[84:87], 0 offen     // 000000003AE4: E05C1000 80957831
	v_mfma_f32_16x16x32_fp8_fp8 v[124:127], a[68:69], a[28:29], v[124:127]// 000000003AEC: D3F3007C 1DF23944
	v_mfma_f32_16x16x32_fp8_fp8 v[124:127], a[70:71], a[30:31], v[124:127]// 000000003AF4: D3F3007C 1DF23D46
	ds_read_b128 a[16:19], v2 offset:13568                     // 000000003AFC: DBFE3500 10000002
	ds_read_b128 a[20:23], v2 offset:13632                     // 000000003B04: DBFE3540 14000002
	v_mfma_f32_16x16x32_fp8_fp8 v[136:139], a[72:73], a[24:25], v[136:139]// 000000003B0C: D3F30088 1E223148
	v_mfma_f32_16x16x32_fp8_fp8 v[136:139], a[74:75], a[26:27], v[136:139]// 000000003B14: D3F30088 1E22354A
	buffer_load_dwordx4 a[124:127], v49, s[84:87], 0 offen offset:1024// 000000003B1C: E05C1400 80957C31
	v_mfma_f32_16x16x32_fp8_fp8 v[136:139], a[76:77], a[28:29], v[136:139]// 000000003B24: D3F30088 1E22394C
	v_mfma_f32_16x16x32_fp8_fp8 v[136:139], a[78:79], a[30:31], v[136:139]// 000000003B2C: D3F30088 1E223D4E
	v_mfma_f32_16x16x32_fp8_fp8 v[104:107], a[48:49], a[32:33], v[104:107]// 000000003B34: D3F30068 1DA24130
	v_mfma_f32_16x16x32_fp8_fp8 v[104:107], a[50:51], a[34:35], v[104:107]// 000000003B3C: D3F30068 1DA24532
	buffer_load_dwordx4 a[128:131], v50, s[84:87], 0 offen     // 000000003B44: E05C1000 80958032
	v_mfma_f32_16x16x32_fp8_fp8 v[104:107], a[52:53], a[36:37], v[104:107]// 000000003B4C: D3F30068 1DA24934
	v_mfma_f32_16x16x32_fp8_fp8 v[104:107], a[54:55], a[38:39], v[104:107]// 000000003B54: D3F30068 1DA24D36
	v_mfma_f32_16x16x32_fp8_fp8 v[116:119], a[56:57], a[32:33], v[116:119]// 000000003B5C: D3F30074 1DD24138
	v_mfma_f32_16x16x32_fp8_fp8 v[116:119], a[58:59], a[34:35], v[116:119]// 000000003B64: D3F30074 1DD2453A
	buffer_load_dwordx4 a[132:135], v50, s[84:87], 0 offen offset:1024// 000000003B6C: E05C1400 80958432
	v_mfma_f32_16x16x32_fp8_fp8 v[116:119], a[60:61], a[36:37], v[116:119]// 000000003B74: D3F30074 1DD2493C
	v_mfma_f32_16x16x32_fp8_fp8 v[116:119], a[62:63], a[38:39], v[116:119]// 000000003B7C: D3F30074 1DD24D3E
	v_mfma_f32_16x16x32_fp8_fp8 v[128:131], a[64:65], a[32:33], v[128:131]// 000000003B84: D3F30080 1E024140
	v_mfma_f32_16x16x32_fp8_fp8 v[128:131], a[66:67], a[34:35], v[128:131]// 000000003B8C: D3F30080 1E024542
	buffer_load_dwordx4 a[136:139], v51, s[84:87], 0 offen     // 000000003B94: E05C1000 80958833
	v_mfma_f32_16x16x32_fp8_fp8 v[128:131], a[68:69], a[36:37], v[128:131]// 000000003B9C: D3F30080 1E024944
	v_mfma_f32_16x16x32_fp8_fp8 v[128:131], a[70:71], a[38:39], v[128:131]// 000000003BA4: D3F30080 1E024D46
	v_mfma_f32_16x16x32_fp8_fp8 v[140:143], a[72:73], a[32:33], v[140:143]// 000000003BAC: D3F3008C 1E324148
	v_mfma_f32_16x16x32_fp8_fp8 v[140:143], a[74:75], a[34:35], v[140:143]// 000000003BB4: D3F3008C 1E32454A
	buffer_load_dwordx4 a[140:143], v51, s[84:87], 0 offen offset:1024// 000000003BBC: E05C1400 80958C33
	v_mfma_f32_16x16x32_fp8_fp8 v[140:143], a[76:77], a[36:37], v[140:143]// 000000003BC4: D3F3008C 1E32494C
	v_mfma_f32_16x16x32_fp8_fp8 v[140:143], a[78:79], a[38:39], v[140:143]// 000000003BCC: D3F3008C 1E324D4E
	v_mfma_f32_16x16x32_fp8_fp8 v[108:111], a[48:49], a[40:41], v[108:111]// 000000003BD4: D3F3006C 1DB25130
	v_mfma_f32_16x16x32_fp8_fp8 v[108:111], a[50:51], a[42:43], v[108:111]// 000000003BDC: D3F3006C 1DB25532
	v_mfma_f32_16x16x32_fp8_fp8 v[108:111], a[52:53], a[44:45], v[108:111]// 000000003BE4: D3F3006C 1DB25934
	v_mfma_f32_16x16x32_fp8_fp8 v[108:111], a[54:55], a[46:47], v[108:111]// 000000003BEC: D3F3006C 1DB25D36
	v_mfma_f32_16x16x32_fp8_fp8 v[120:123], a[56:57], a[40:41], v[120:123]// 000000003BF4: D3F30078 1DE25138
	v_mfma_f32_16x16x32_fp8_fp8 v[120:123], a[58:59], a[42:43], v[120:123]// 000000003BFC: D3F30078 1DE2553A
	v_mfma_f32_16x16x32_fp8_fp8 v[120:123], a[60:61], a[44:45], v[120:123]// 000000003C04: D3F30078 1DE2593C
	v_mfma_f32_16x16x32_fp8_fp8 v[120:123], a[62:63], a[46:47], v[120:123]// 000000003C0C: D3F30078 1DE25D3E
	v_mfma_f32_16x16x32_fp8_fp8 v[132:135], a[64:65], a[40:41], v[132:135]// 000000003C14: D3F30084 1E125140
	s_add_u32 s60, 0x180, s80                                  // 000000003C1C: 803C50FF 00000180
	s_cmp_lt_u32 s60, s81                                      // 000000003C24: BF0A513C
	s_cselect_b32 s57, s57, 0                                  // 000000003C28: 85398039
	v_mfma_f32_16x16x32_fp8_fp8 v[132:135], a[66:67], a[42:43], v[132:135]// 000000003C2C: D3F30084 1E125542
	s_add_u32 s60, 0x100, s80                                  // 000000003C34: 803C50FF 00000100
	s_cmp_lt_u32 s60, s81                                      // 000000003C3C: BF0A513C
	s_cselect_b32 s58, s58, 0                                  // 000000003C40: 853A803A
	v_mfma_f32_16x16x32_fp8_fp8 v[132:135], a[68:69], a[44:45], v[132:135]// 000000003C44: D3F30084 1E125944
	s_add_u32 s60, 0x100, s80                                  // 000000003C4C: 803C50FF 00000100
	s_cmp_lt_u32 s60, s81                                      // 000000003C54: BF0A513C
	s_cselect_b32 s83, s83, 0                                  // 000000003C58: 85538053
	v_mfma_f32_16x16x32_fp8_fp8 v[132:135], a[70:71], a[46:47], v[132:135]// 000000003C5C: D3F30084 1E125D46
	s_add_u32 s24, s58, s24                                    // 000000003C64: 8018183A
	s_addc_u32 s25, 0, s25                                     // 000000003C68: 82191980
	v_mfma_f32_16x16x32_fp8_fp8 v[144:147], a[72:73], a[40:41], v[144:147]// 000000003C6C: D3F30090 1E425148
	s_add_u32 s20, s57, s20                                    // 000000003C74: 80141439
	s_addc_u32 s21, 0, s21                                     // 000000003C78: 82151580
	v_mfma_f32_16x16x32_fp8_fp8 v[144:147], a[74:75], a[42:43], v[144:147]// 000000003C7C: D3F30090 1E42554A
	s_add_u32 s84, s83, s84                                    // 000000003C84: 80545453
	s_addc_u32 s85, 0, s85                                     // 000000003C88: 82555580
	v_mfma_f32_16x16x32_fp8_fp8 v[144:147], a[76:77], a[44:45], v[144:147]// 000000003C8C: D3F30090 1E42594C
	v_mfma_f32_16x16x32_fp8_fp8 v[144:147], a[78:79], a[46:47], v[144:147]// 000000003C94: D3F30090 1E425D4E
	s_addk_i32 s80, 0x80                                       // 000000003C9C: B7500080
	s_cmp_lt_i32 s80, s81                                      // 000000003CA0: BF045150
	s_cbranch_scc0 label_0917                                  // 000000003CA4: BF84046D
	s_waitcnt vmcnt(14) lgkmcnt(0)                             // 000000003CA8: BF8C007E
	v_mfma_f32_16x16x32_fp8_fp8 v[52:55], a[80:81], a[0:1], v[52:55]// 000000003CAC: D3F30034 1CD20150
	v_mfma_f32_16x16x32_fp8_fp8 v[52:55], a[82:83], a[2:3], v[52:55]// 000000003CB4: D3F30034 1CD20552
	buffer_load_dwordx4 a[48:51], v48, s[24:27], 0 offen       // 000000003CBC: E05C1000 80863030
	v_mfma_f32_16x16x32_fp8_fp8 v[52:55], a[84:85], a[4:5], v[52:55]// 000000003CC4: D3F30034 1CD20954
	v_mfma_f32_16x16x32_fp8_fp8 v[52:55], a[86:87], a[6:7], v[52:55]// 000000003CCC: D3F30034 1CD20D56
	v_mfma_f32_16x16x32_fp8_fp8 v[64:67], a[88:89], a[0:1], v[64:67]// 000000003CD4: D3F30040 1D020158
	v_mfma_f32_16x16x32_fp8_fp8 v[64:67], a[90:91], a[2:3], v[64:67]// 000000003CDC: D3F30040 1D02055A
	buffer_load_dwordx4 a[52:55], v48, s[24:27], 0 offen offset:1024// 000000003CE4: E05C1400 80863430
	v_mfma_f32_16x16x32_fp8_fp8 v[64:67], a[92:93], a[4:5], v[64:67]// 000000003CEC: D3F30040 1D02095C
	v_mfma_f32_16x16x32_fp8_fp8 v[64:67], a[94:95], a[6:7], v[64:67]// 000000003CF4: D3F30040 1D020D5E
	v_mfma_f32_16x16x32_fp8_fp8 v[76:79], a[96:97], a[0:1], v[76:79]// 000000003CFC: D3F3004C 1D320160
	v_mfma_f32_16x16x32_fp8_fp8 v[76:79], a[98:99], a[2:3], v[76:79]// 000000003D04: D3F3004C 1D320562
	buffer_load_dwordx4 a[56:59], v49, s[24:27], 0 offen       // 000000003D0C: E05C1000 80863831
	v_mfma_f32_16x16x32_fp8_fp8 v[76:79], a[100:101], a[4:5], v[76:79]// 000000003D14: D3F3004C 1D320964
	v_mfma_f32_16x16x32_fp8_fp8 v[76:79], a[102:103], a[6:7], v[76:79]// 000000003D1C: D3F3004C 1D320D66
	v_mfma_f32_16x16x32_fp8_fp8 v[88:91], a[104:105], a[0:1], v[88:91]// 000000003D24: D3F30058 1D620168
	v_mfma_f32_16x16x32_fp8_fp8 v[88:91], a[106:107], a[2:3], v[88:91]// 000000003D2C: D3F30058 1D62056A
	buffer_load_dwordx4 a[60:63], v49, s[24:27], 0 offen offset:1024// 000000003D34: E05C1400 80863C31
	v_mfma_f32_16x16x32_fp8_fp8 v[88:91], a[108:109], a[4:5], v[88:91]// 000000003D3C: D3F30058 1D62096C
	v_mfma_f32_16x16x32_fp8_fp8 v[88:91], a[110:111], a[6:7], v[88:91]// 000000003D44: D3F30058 1D620D6E
	v_mfma_f32_16x16x32_fp8_fp8 v[56:59], a[80:81], a[8:9], v[56:59]// 000000003D4C: D3F30038 1CE21150
	v_mfma_f32_16x16x32_fp8_fp8 v[56:59], a[82:83], a[10:11], v[56:59]// 000000003D54: D3F30038 1CE21552
	buffer_load_dwordx4 a[64:67], v50, s[24:27], 0 offen       // 000000003D5C: E05C1000 80864032
	v_mfma_f32_16x16x32_fp8_fp8 v[56:59], a[84:85], a[12:13], v[56:59]// 000000003D64: D3F30038 1CE21954
	v_mfma_f32_16x16x32_fp8_fp8 v[56:59], a[86:87], a[14:15], v[56:59]// 000000003D6C: D3F30038 1CE21D56
	v_mfma_f32_16x16x32_fp8_fp8 v[68:71], a[88:89], a[8:9], v[68:71]// 000000003D74: D3F30044 1D121158
	v_mfma_f32_16x16x32_fp8_fp8 v[68:71], a[90:91], a[10:11], v[68:71]// 000000003D7C: D3F30044 1D12155A
	buffer_load_dwordx4 a[68:71], v50, s[24:27], 0 offen offset:1024// 000000003D84: E05C1400 80864432
	v_mfma_f32_16x16x32_fp8_fp8 v[68:71], a[92:93], a[12:13], v[68:71]// 000000003D8C: D3F30044 1D12195C
	v_mfma_f32_16x16x32_fp8_fp8 v[68:71], a[94:95], a[14:15], v[68:71]// 000000003D94: D3F30044 1D121D5E
	v_mfma_f32_16x16x32_fp8_fp8 v[80:83], a[96:97], a[8:9], v[80:83]// 000000003D9C: D3F30050 1D421160
	v_mfma_f32_16x16x32_fp8_fp8 v[80:83], a[98:99], a[10:11], v[80:83]// 000000003DA4: D3F30050 1D421562
	buffer_load_dwordx4 a[72:75], v51, s[24:27], 0 offen       // 000000003DAC: E05C1000 80864833
	v_mfma_f32_16x16x32_fp8_fp8 v[80:83], a[100:101], a[12:13], v[80:83]// 000000003DB4: D3F30050 1D421964
	v_mfma_f32_16x16x32_fp8_fp8 v[80:83], a[102:103], a[14:15], v[80:83]// 000000003DBC: D3F30050 1D421D66
	v_mfma_f32_16x16x32_fp8_fp8 v[92:95], a[104:105], a[8:9], v[92:95]// 000000003DC4: D3F3005C 1D721168
	v_mfma_f32_16x16x32_fp8_fp8 v[92:95], a[106:107], a[10:11], v[92:95]// 000000003DCC: D3F3005C 1D72156A
	buffer_load_dwordx4 a[76:79], v51, s[24:27], 0 offen offset:1024// 000000003DD4: E05C1400 80864C33
	buffer_load_dword v42, s[20:23], 0 offen lds               // 000000003DDC: E0511000 8005002A
	s_add_u32 m0, 0x100, s49                                   // 000000003DE4: 807C31FF 00000100
	v_mfma_f32_16x16x32_fp8_fp8 v[92:95], a[108:109], a[12:13], v[92:95]// 000000003DEC: D3F3005C 1D72196C
	v_mfma_f32_16x16x32_fp8_fp8 v[92:95], a[110:111], a[14:15], v[92:95]// 000000003DF4: D3F3005C 1D721D6E
	buffer_load_dword v43, s[20:23], 0 offen lds               // 000000003DFC: E0511000 8005002B
	s_add_u32 m0, 0x200, s49                                   // 000000003E04: 807C31FF 00000200
	v_mfma_f32_16x16x32_fp8_fp8 v[60:63], a[80:81], a[16:17], v[60:63]// 000000003E0C: D3F3003C 1CF22150
	v_mfma_f32_16x16x32_fp8_fp8 v[60:63], a[82:83], a[18:19], v[60:63]// 000000003E14: D3F3003C 1CF22552
	buffer_load_dword v44, s[20:23], 0 offen lds               // 000000003E1C: E0511000 8005002C
	s_add_u32 m0, 0x300, s49                                   // 000000003E24: 807C31FF 00000300
	v_mfma_f32_16x16x32_fp8_fp8 v[60:63], a[84:85], a[20:21], v[60:63]// 000000003E2C: D3F3003C 1CF22954
	v_mfma_f32_16x16x32_fp8_fp8 v[60:63], a[86:87], a[22:23], v[60:63]// 000000003E34: D3F3003C 1CF22D56
	buffer_load_dword v45, s[20:23], 0 offen lds               // 000000003E3C: E0511000 8005002D
	s_add_u32 m0, 0x400, s49                                   // 000000003E44: 807C31FF 00000400
	v_mfma_f32_16x16x32_fp8_fp8 v[72:75], a[88:89], a[16:17], v[72:75]// 000000003E4C: D3F30048 1D222158
	v_mfma_f32_16x16x32_fp8_fp8 v[72:75], a[90:91], a[18:19], v[72:75]// 000000003E54: D3F30048 1D22255A
	buffer_load_dword v46, s[20:23], 0 offen lds               // 000000003E5C: E0511000 8005002E
	s_add_u32 m0, 0x500, s49                                   // 000000003E64: 807C31FF 00000500
	v_mfma_f32_16x16x32_fp8_fp8 v[72:75], a[92:93], a[20:21], v[72:75]// 000000003E6C: D3F30048 1D22295C
	v_mfma_f32_16x16x32_fp8_fp8 v[72:75], a[94:95], a[22:23], v[72:75]// 000000003E74: D3F30048 1D222D5E
	buffer_load_dword v47, s[20:23], 0 offen lds               // 000000003E7C: E0511000 8005002F
	s_add_u32 m0, 0, s50                                       // 000000003E84: 807C3280
	v_mfma_f32_16x16x32_fp8_fp8 v[84:87], a[96:97], a[16:17], v[84:87]// 000000003E88: D3F30054 1D522160
	v_mfma_f32_16x16x32_fp8_fp8 v[84:87], a[98:99], a[18:19], v[84:87]// 000000003E90: D3F30054 1D522562
	v_mfma_f32_16x16x32_fp8_fp8 v[84:87], a[100:101], a[20:21], v[84:87]// 000000003E98: D3F30054 1D522964
	v_mfma_f32_16x16x32_fp8_fp8 v[84:87], a[102:103], a[22:23], v[84:87]// 000000003EA0: D3F30054 1D522D66
	v_mfma_f32_16x16x32_fp8_fp8 v[96:99], a[104:105], a[16:17], v[96:99]// 000000003EA8: D3F30060 1D822168
	v_mfma_f32_16x16x32_fp8_fp8 v[96:99], a[106:107], a[18:19], v[96:99]// 000000003EB0: D3F30060 1D82256A
	v_mfma_f32_16x16x32_fp8_fp8 v[96:99], a[108:109], a[20:21], v[96:99]// 000000003EB8: D3F30060 1D82296C
	v_mfma_f32_16x16x32_fp8_fp8 v[96:99], a[110:111], a[22:23], v[96:99]// 000000003EC0: D3F30060 1D822D6E
	s_waitcnt vmcnt(14)                                        // 000000003EC8: BF8C0F7E
	s_barrier                                                  // 000000003ECC: BF8A0000
	v_mfma_f32_16x16x32_fp8_fp8 v[100:103], a[112:113], a[0:1], v[100:103]// 000000003ED0: D3F30064 1D920170
	v_mfma_f32_16x16x32_fp8_fp8 v[100:103], a[114:115], a[2:3], v[100:103]// 000000003ED8: D3F30064 1D920572
	buffer_load_dwordx4 a[80:83], v48, s[84:87], 0 offen       // 000000003EE0: E05C1000 80955030
	v_mfma_f32_16x16x32_fp8_fp8 v[100:103], a[116:117], a[4:5], v[100:103]// 000000003EE8: D3F30064 1D920974
	v_mfma_f32_16x16x32_fp8_fp8 v[100:103], a[118:119], a[6:7], v[100:103]// 000000003EF0: D3F30064 1D920D76
	ds_read_b128 a[24:27], v2                                  // 000000003EF8: DBFE0000 18000002
	ds_read_b128 a[28:31], v2 offset:64                        // 000000003F00: DBFE0040 1C000002
	v_mfma_f32_16x16x32_fp8_fp8 v[112:115], a[120:121], a[0:1], v[112:115]// 000000003F08: D3F30070 1DC20178
	v_mfma_f32_16x16x32_fp8_fp8 v[112:115], a[122:123], a[2:3], v[112:115]// 000000003F10: D3F30070 1DC2057A
	buffer_load_dwordx4 a[84:87], v48, s[84:87], 0 offen offset:1024// 000000003F18: E05C1400 80955430
	v_mfma_f32_16x16x32_fp8_fp8 v[112:115], a[124:125], a[4:5], v[112:115]// 000000003F20: D3F30070 1DC2097C
	v_mfma_f32_16x16x32_fp8_fp8 v[112:115], a[126:127], a[6:7], v[112:115]// 000000003F28: D3F30070 1DC20D7E
	ds_read_b128 a[32:35], v2 offset:512                       // 000000003F30: DBFE0200 20000002
	ds_read_b128 a[36:39], v2 offset:576                       // 000000003F38: DBFE0240 24000002
	v_mfma_f32_16x16x32_fp8_fp8 v[124:127], a[128:129], a[0:1], v[124:127]// 000000003F40: D3F3007C 1DF20180
	v_mfma_f32_16x16x32_fp8_fp8 v[124:127], a[130:131], a[2:3], v[124:127]// 000000003F48: D3F3007C 1DF20582
	buffer_load_dwordx4 a[88:91], v49, s[84:87], 0 offen       // 000000003F50: E05C1000 80955831
	v_mfma_f32_16x16x32_fp8_fp8 v[124:127], a[132:133], a[4:5], v[124:127]// 000000003F58: D3F3007C 1DF20984
	v_mfma_f32_16x16x32_fp8_fp8 v[124:127], a[134:135], a[6:7], v[124:127]// 000000003F60: D3F3007C 1DF20D86
	ds_read_b128 a[40:43], v2 offset:1024                      // 000000003F68: DBFE0400 28000002
	ds_read_b128 a[44:47], v2 offset:1088                      // 000000003F70: DBFE0440 2C000002
	v_mfma_f32_16x16x32_fp8_fp8 v[136:139], a[136:137], a[0:1], v[136:139]// 000000003F78: D3F30088 1E220188
	v_mfma_f32_16x16x32_fp8_fp8 v[136:139], a[138:139], a[2:3], v[136:139]// 000000003F80: D3F30088 1E22058A
	buffer_load_dwordx4 a[92:95], v49, s[84:87], 0 offen offset:1024// 000000003F88: E05C1400 80955C31
	v_mfma_f32_16x16x32_fp8_fp8 v[136:139], a[140:141], a[4:5], v[136:139]// 000000003F90: D3F30088 1E22098C
	v_mfma_f32_16x16x32_fp8_fp8 v[136:139], a[142:143], a[6:7], v[136:139]// 000000003F98: D3F30088 1E220D8E
	v_mfma_f32_16x16x32_fp8_fp8 v[104:107], a[112:113], a[8:9], v[104:107]// 000000003FA0: D3F30068 1DA21170
	v_mfma_f32_16x16x32_fp8_fp8 v[104:107], a[114:115], a[10:11], v[104:107]// 000000003FA8: D3F30068 1DA21572
	buffer_load_dwordx4 a[96:99], v50, s[84:87], 0 offen       // 000000003FB0: E05C1000 80956032
	v_mfma_f32_16x16x32_fp8_fp8 v[104:107], a[116:117], a[12:13], v[104:107]// 000000003FB8: D3F30068 1DA21974
	v_mfma_f32_16x16x32_fp8_fp8 v[104:107], a[118:119], a[14:15], v[104:107]// 000000003FC0: D3F30068 1DA21D76
	v_mfma_f32_16x16x32_fp8_fp8 v[116:119], a[120:121], a[8:9], v[116:119]// 000000003FC8: D3F30074 1DD21178
	v_mfma_f32_16x16x32_fp8_fp8 v[116:119], a[122:123], a[10:11], v[116:119]// 000000003FD0: D3F30074 1DD2157A
	buffer_load_dwordx4 a[100:103], v50, s[84:87], 0 offen offset:1024// 000000003FD8: E05C1400 80956432
	v_mfma_f32_16x16x32_fp8_fp8 v[116:119], a[124:125], a[12:13], v[116:119]// 000000003FE0: D3F30074 1DD2197C
	v_mfma_f32_16x16x32_fp8_fp8 v[116:119], a[126:127], a[14:15], v[116:119]// 000000003FE8: D3F30074 1DD21D7E
	v_mfma_f32_16x16x32_fp8_fp8 v[128:131], a[128:129], a[8:9], v[128:131]// 000000003FF0: D3F30080 1E021180
	v_mfma_f32_16x16x32_fp8_fp8 v[128:131], a[130:131], a[10:11], v[128:131]// 000000003FF8: D3F30080 1E021582
	buffer_load_dwordx4 a[104:107], v51, s[84:87], 0 offen     // 000000004000: E05C1000 80956833
	v_mfma_f32_16x16x32_fp8_fp8 v[128:131], a[132:133], a[12:13], v[128:131]// 000000004008: D3F30080 1E021984
	v_mfma_f32_16x16x32_fp8_fp8 v[128:131], a[134:135], a[14:15], v[128:131]// 000000004010: D3F30080 1E021D86
	v_mfma_f32_16x16x32_fp8_fp8 v[140:143], a[136:137], a[8:9], v[140:143]// 000000004018: D3F3008C 1E321188
	v_mfma_f32_16x16x32_fp8_fp8 v[140:143], a[138:139], a[10:11], v[140:143]// 000000004020: D3F3008C 1E32158A
	buffer_load_dwordx4 a[108:111], v51, s[84:87], 0 offen offset:1024// 000000004028: E05C1400 80956C33
	v_mfma_f32_16x16x32_fp8_fp8 v[140:143], a[140:141], a[12:13], v[140:143]// 000000004030: D3F3008C 1E32198C
	v_mfma_f32_16x16x32_fp8_fp8 v[140:143], a[142:143], a[14:15], v[140:143]// 000000004038: D3F3008C 1E321D8E
	v_mfma_f32_16x16x32_fp8_fp8 v[108:111], a[112:113], a[16:17], v[108:111]// 000000004040: D3F3006C 1DB22170
	v_mfma_f32_16x16x32_fp8_fp8 v[108:111], a[114:115], a[18:19], v[108:111]// 000000004048: D3F3006C 1DB22572
	v_mfma_f32_16x16x32_fp8_fp8 v[108:111], a[116:117], a[20:21], v[108:111]// 000000004050: D3F3006C 1DB22974
	v_mfma_f32_16x16x32_fp8_fp8 v[108:111], a[118:119], a[22:23], v[108:111]// 000000004058: D3F3006C 1DB22D76
	v_mfma_f32_16x16x32_fp8_fp8 v[120:123], a[120:121], a[16:17], v[120:123]// 000000004060: D3F30078 1DE22178
	v_mfma_f32_16x16x32_fp8_fp8 v[120:123], a[122:123], a[18:19], v[120:123]// 000000004068: D3F30078 1DE2257A
	v_mfma_f32_16x16x32_fp8_fp8 v[120:123], a[124:125], a[20:21], v[120:123]// 000000004070: D3F30078 1DE2297C
	v_mfma_f32_16x16x32_fp8_fp8 v[120:123], a[126:127], a[22:23], v[120:123]// 000000004078: D3F30078 1DE22D7E
	v_mfma_f32_16x16x32_fp8_fp8 v[132:135], a[128:129], a[16:17], v[132:135]// 000000004080: D3F30084 1E122180
	s_add_u32 s60, 0x180, s80                                  // 000000004088: 803C50FF 00000180
	s_cmp_lt_u32 s60, s81                                      // 000000004090: BF0A513C
	s_cselect_b32 s57, s57, 0                                  // 000000004094: 85398039
	v_mfma_f32_16x16x32_fp8_fp8 v[132:135], a[130:131], a[18:19], v[132:135]// 000000004098: D3F30084 1E122582
	s_add_u32 s60, 0x100, s80                                  // 0000000040A0: 803C50FF 00000100
	s_cmp_lt_u32 s60, s81                                      // 0000000040A8: BF0A513C
	s_cselect_b32 s58, s58, 0                                  // 0000000040AC: 853A803A
	v_mfma_f32_16x16x32_fp8_fp8 v[132:135], a[132:133], a[20:21], v[132:135]// 0000000040B0: D3F30084 1E122984
	s_add_u32 s60, 0x100, s80                                  // 0000000040B8: 803C50FF 00000100
	s_cmp_lt_u32 s60, s81                                      // 0000000040C0: BF0A513C
	s_cselect_b32 s83, s83, 0                                  // 0000000040C4: 85538053
	v_mfma_f32_16x16x32_fp8_fp8 v[132:135], a[134:135], a[22:23], v[132:135]// 0000000040C8: D3F30084 1E122D86
	s_add_u32 s24, s58, s24                                    // 0000000040D0: 8018183A
	s_addc_u32 s25, 0, s25                                     // 0000000040D4: 82191980
	v_mfma_f32_16x16x32_fp8_fp8 v[144:147], a[136:137], a[16:17], v[144:147]// 0000000040D8: D3F30090 1E422188
	s_add_u32 s20, s57, s20                                    // 0000000040E0: 80141439
	s_addc_u32 s21, 0, s21                                     // 0000000040E4: 82151580
	v_mfma_f32_16x16x32_fp8_fp8 v[144:147], a[138:139], a[18:19], v[144:147]// 0000000040E8: D3F30090 1E42258A
	s_add_u32 s84, s83, s84                                    // 0000000040F0: 80545453
	s_addc_u32 s85, 0, s85                                     // 0000000040F4: 82555580
	v_mfma_f32_16x16x32_fp8_fp8 v[144:147], a[140:141], a[20:21], v[144:147]// 0000000040F8: D3F30090 1E42298C
	v_mfma_f32_16x16x32_fp8_fp8 v[144:147], a[142:143], a[22:23], v[144:147]// 000000004100: D3F30090 1E422D8E
	s_addk_i32 s80, 0x80                                       // 000000004108: B7500080
	s_cmp_lt_i32 s80, s81                                      // 00000000410C: BF045150
	s_cbranch_scc0 label_0917                                  // 000000004110: BF840352
	s_waitcnt vmcnt(14) lgkmcnt(0)                             // 000000004114: BF8C007E
	v_mfma_f32_16x16x32_fp8_fp8 v[52:55], a[48:49], a[24:25], v[52:55]// 000000004118: D3F30034 1CD23130
	v_mfma_f32_16x16x32_fp8_fp8 v[52:55], a[50:51], a[26:27], v[52:55]// 000000004120: D3F30034 1CD23532
	buffer_load_dwordx4 a[112:115], v48, s[24:27], 0 offen     // 000000004128: E05C1000 80867030
	v_mfma_f32_16x16x32_fp8_fp8 v[52:55], a[52:53], a[28:29], v[52:55]// 000000004130: D3F30034 1CD23934
	v_mfma_f32_16x16x32_fp8_fp8 v[52:55], a[54:55], a[30:31], v[52:55]// 000000004138: D3F30034 1CD23D36
	v_mfma_f32_16x16x32_fp8_fp8 v[64:67], a[56:57], a[24:25], v[64:67]// 000000004140: D3F30040 1D023138
	v_mfma_f32_16x16x32_fp8_fp8 v[64:67], a[58:59], a[26:27], v[64:67]// 000000004148: D3F30040 1D02353A
	buffer_load_dwordx4 a[116:119], v48, s[24:27], 0 offen offset:1024// 000000004150: E05C1400 80867430
	v_mfma_f32_16x16x32_fp8_fp8 v[64:67], a[60:61], a[28:29], v[64:67]// 000000004158: D3F30040 1D02393C
	v_mfma_f32_16x16x32_fp8_fp8 v[64:67], a[62:63], a[30:31], v[64:67]// 000000004160: D3F30040 1D023D3E
	v_mfma_f32_16x16x32_fp8_fp8 v[76:79], a[64:65], a[24:25], v[76:79]// 000000004168: D3F3004C 1D323140
	v_mfma_f32_16x16x32_fp8_fp8 v[76:79], a[66:67], a[26:27], v[76:79]// 000000004170: D3F3004C 1D323542
	buffer_load_dwordx4 a[120:123], v49, s[24:27], 0 offen     // 000000004178: E05C1000 80867831
	v_mfma_f32_16x16x32_fp8_fp8 v[76:79], a[68:69], a[28:29], v[76:79]// 000000004180: D3F3004C 1D323944
	v_mfma_f32_16x16x32_fp8_fp8 v[76:79], a[70:71], a[30:31], v[76:79]// 000000004188: D3F3004C 1D323D46
	v_mfma_f32_16x16x32_fp8_fp8 v[88:91], a[72:73], a[24:25], v[88:91]// 000000004190: D3F30058 1D623148
	v_mfma_f32_16x16x32_fp8_fp8 v[88:91], a[74:75], a[26:27], v[88:91]// 000000004198: D3F30058 1D62354A
	buffer_load_dwordx4 a[124:127], v49, s[24:27], 0 offen offset:1024// 0000000041A0: E05C1400 80867C31
	v_mfma_f32_16x16x32_fp8_fp8 v[88:91], a[76:77], a[28:29], v[88:91]// 0000000041A8: D3F30058 1D62394C
	v_mfma_f32_16x16x32_fp8_fp8 v[88:91], a[78:79], a[30:31], v[88:91]// 0000000041B0: D3F30058 1D623D4E
	v_mfma_f32_16x16x32_fp8_fp8 v[56:59], a[48:49], a[32:33], v[56:59]// 0000000041B8: D3F30038 1CE24130
	v_mfma_f32_16x16x32_fp8_fp8 v[56:59], a[50:51], a[34:35], v[56:59]// 0000000041C0: D3F30038 1CE24532
	buffer_load_dwordx4 a[128:131], v50, s[24:27], 0 offen     // 0000000041C8: E05C1000 80868032
	v_mfma_f32_16x16x32_fp8_fp8 v[56:59], a[52:53], a[36:37], v[56:59]// 0000000041D0: D3F30038 1CE24934
	v_mfma_f32_16x16x32_fp8_fp8 v[56:59], a[54:55], a[38:39], v[56:59]// 0000000041D8: D3F30038 1CE24D36
	v_mfma_f32_16x16x32_fp8_fp8 v[68:71], a[56:57], a[32:33], v[68:71]// 0000000041E0: D3F30044 1D124138
	v_mfma_f32_16x16x32_fp8_fp8 v[68:71], a[58:59], a[34:35], v[68:71]// 0000000041E8: D3F30044 1D12453A
	buffer_load_dwordx4 a[132:135], v50, s[24:27], 0 offen offset:1024// 0000000041F0: E05C1400 80868432
	v_mfma_f32_16x16x32_fp8_fp8 v[68:71], a[60:61], a[36:37], v[68:71]// 0000000041F8: D3F30044 1D12493C
	v_mfma_f32_16x16x32_fp8_fp8 v[68:71], a[62:63], a[38:39], v[68:71]// 000000004200: D3F30044 1D124D3E
	v_mfma_f32_16x16x32_fp8_fp8 v[80:83], a[64:65], a[32:33], v[80:83]// 000000004208: D3F30050 1D424140
	v_mfma_f32_16x16x32_fp8_fp8 v[80:83], a[66:67], a[34:35], v[80:83]// 000000004210: D3F30050 1D424542
	buffer_load_dwordx4 a[136:139], v51, s[24:27], 0 offen     // 000000004218: E05C1000 80868833
	v_mfma_f32_16x16x32_fp8_fp8 v[80:83], a[68:69], a[36:37], v[80:83]// 000000004220: D3F30050 1D424944
	v_mfma_f32_16x16x32_fp8_fp8 v[80:83], a[70:71], a[38:39], v[80:83]// 000000004228: D3F30050 1D424D46
	v_mfma_f32_16x16x32_fp8_fp8 v[92:95], a[72:73], a[32:33], v[92:95]// 000000004230: D3F3005C 1D724148
	v_mfma_f32_16x16x32_fp8_fp8 v[92:95], a[74:75], a[34:35], v[92:95]// 000000004238: D3F3005C 1D72454A
	buffer_load_dwordx4 a[140:143], v51, s[24:27], 0 offen offset:1024// 000000004240: E05C1400 80868C33
	buffer_load_dword v42, s[20:23], 0 offen lds               // 000000004248: E0511000 8005002A
	s_add_u32 m0, 0x100, s50                                   // 000000004250: 807C32FF 00000100
	v_mfma_f32_16x16x32_fp8_fp8 v[92:95], a[76:77], a[36:37], v[92:95]// 000000004258: D3F3005C 1D72494C
	v_mfma_f32_16x16x32_fp8_fp8 v[92:95], a[78:79], a[38:39], v[92:95]// 000000004260: D3F3005C 1D724D4E
	buffer_load_dword v43, s[20:23], 0 offen lds               // 000000004268: E0511000 8005002B
	s_add_u32 m0, 0x200, s50                                   // 000000004270: 807C32FF 00000200
	v_mfma_f32_16x16x32_fp8_fp8 v[60:63], a[48:49], a[40:41], v[60:63]// 000000004278: D3F3003C 1CF25130
	v_mfma_f32_16x16x32_fp8_fp8 v[60:63], a[50:51], a[42:43], v[60:63]// 000000004280: D3F3003C 1CF25532
	buffer_load_dword v44, s[20:23], 0 offen lds               // 000000004288: E0511000 8005002C
	s_add_u32 m0, 0x300, s50                                   // 000000004290: 807C32FF 00000300
	v_mfma_f32_16x16x32_fp8_fp8 v[60:63], a[52:53], a[44:45], v[60:63]// 000000004298: D3F3003C 1CF25934
	v_mfma_f32_16x16x32_fp8_fp8 v[60:63], a[54:55], a[46:47], v[60:63]// 0000000042A0: D3F3003C 1CF25D36
	buffer_load_dword v45, s[20:23], 0 offen lds               // 0000000042A8: E0511000 8005002D
	s_add_u32 m0, 0x400, s50                                   // 0000000042B0: 807C32FF 00000400
	v_mfma_f32_16x16x32_fp8_fp8 v[72:75], a[56:57], a[40:41], v[72:75]// 0000000042B8: D3F30048 1D225138
	v_mfma_f32_16x16x32_fp8_fp8 v[72:75], a[58:59], a[42:43], v[72:75]// 0000000042C0: D3F30048 1D22553A
	buffer_load_dword v46, s[20:23], 0 offen lds               // 0000000042C8: E0511000 8005002E
	s_add_u32 m0, 0x500, s50                                   // 0000000042D0: 807C32FF 00000500
	v_mfma_f32_16x16x32_fp8_fp8 v[72:75], a[60:61], a[44:45], v[72:75]// 0000000042D8: D3F30048 1D22593C
	v_mfma_f32_16x16x32_fp8_fp8 v[72:75], a[62:63], a[46:47], v[72:75]// 0000000042E0: D3F30048 1D225D3E
	buffer_load_dword v47, s[20:23], 0 offen lds               // 0000000042E8: E0511000 8005002F
	s_add_u32 m0, 0, s48                                       // 0000000042F0: 807C3080
	v_mfma_f32_16x16x32_fp8_fp8 v[84:87], a[64:65], a[40:41], v[84:87]// 0000000042F4: D3F30054 1D525140
	v_mfma_f32_16x16x32_fp8_fp8 v[84:87], a[66:67], a[42:43], v[84:87]// 0000000042FC: D3F30054 1D525542
	v_mfma_f32_16x16x32_fp8_fp8 v[84:87], a[68:69], a[44:45], v[84:87]// 000000004304: D3F30054 1D525944
	v_mfma_f32_16x16x32_fp8_fp8 v[84:87], a[70:71], a[46:47], v[84:87]// 00000000430C: D3F30054 1D525D46
	v_mfma_f32_16x16x32_fp8_fp8 v[96:99], a[72:73], a[40:41], v[96:99]// 000000004314: D3F30060 1D825148
	v_mfma_f32_16x16x32_fp8_fp8 v[96:99], a[74:75], a[42:43], v[96:99]// 00000000431C: D3F30060 1D82554A
	v_mfma_f32_16x16x32_fp8_fp8 v[96:99], a[76:77], a[44:45], v[96:99]// 000000004324: D3F30060 1D82594C
	v_mfma_f32_16x16x32_fp8_fp8 v[96:99], a[78:79], a[46:47], v[96:99]// 00000000432C: D3F30060 1D825D4E
	s_waitcnt vmcnt(14)                                        // 000000004334: BF8C0F7E
	s_barrier                                                  // 000000004338: BF8A0000
	v_mfma_f32_16x16x32_fp8_fp8 v[100:103], a[80:81], a[24:25], v[100:103]// 00000000433C: D3F30064 1D923150
	v_mfma_f32_16x16x32_fp8_fp8 v[100:103], a[82:83], a[26:27], v[100:103]// 000000004344: D3F30064 1D923552
	buffer_load_dwordx4 a[48:51], v48, s[84:87], 0 offen       // 00000000434C: E05C1000 80953030
	v_mfma_f32_16x16x32_fp8_fp8 v[100:103], a[84:85], a[28:29], v[100:103]// 000000004354: D3F30064 1D923954
	v_mfma_f32_16x16x32_fp8_fp8 v[100:103], a[86:87], a[30:31], v[100:103]// 00000000435C: D3F30064 1D923D56
	ds_read_b128 a[0:3], v2 offset:6272                        // 000000004364: DBFE1880 00000002
	ds_read_b128 a[4:7], v2 offset:6336                        // 00000000436C: DBFE18C0 04000002
	v_mfma_f32_16x16x32_fp8_fp8 v[112:115], a[88:89], a[24:25], v[112:115]// 000000004374: D3F30070 1DC23158
	v_mfma_f32_16x16x32_fp8_fp8 v[112:115], a[90:91], a[26:27], v[112:115]// 00000000437C: D3F30070 1DC2355A
	buffer_load_dwordx4 a[52:55], v48, s[84:87], 0 offen offset:1024// 000000004384: E05C1400 80953430
	v_mfma_f32_16x16x32_fp8_fp8 v[112:115], a[92:93], a[28:29], v[112:115]// 00000000438C: D3F30070 1DC2395C
	v_mfma_f32_16x16x32_fp8_fp8 v[112:115], a[94:95], a[30:31], v[112:115]// 000000004394: D3F30070 1DC23D5E
	ds_read_b128 a[8:11], v2 offset:6784                       // 00000000439C: DBFE1A80 08000002
	ds_read_b128 a[12:15], v2 offset:6848                      // 0000000043A4: DBFE1AC0 0C000002
	v_mfma_f32_16x16x32_fp8_fp8 v[124:127], a[96:97], a[24:25], v[124:127]// 0000000043AC: D3F3007C 1DF23160
	v_mfma_f32_16x16x32_fp8_fp8 v[124:127], a[98:99], a[26:27], v[124:127]// 0000000043B4: D3F3007C 1DF23562
	buffer_load_dwordx4 a[56:59], v49, s[84:87], 0 offen       // 0000000043BC: E05C1000 80953831
	v_mfma_f32_16x16x32_fp8_fp8 v[124:127], a[100:101], a[28:29], v[124:127]// 0000000043C4: D3F3007C 1DF23964
	v_mfma_f32_16x16x32_fp8_fp8 v[124:127], a[102:103], a[30:31], v[124:127]// 0000000043CC: D3F3007C 1DF23D66
	ds_read_b128 a[16:19], v2 offset:7296                      // 0000000043D4: DBFE1C80 10000002
	ds_read_b128 a[20:23], v2 offset:7360                      // 0000000043DC: DBFE1CC0 14000002
	v_mfma_f32_16x16x32_fp8_fp8 v[136:139], a[104:105], a[24:25], v[136:139]// 0000000043E4: D3F30088 1E223168
	v_mfma_f32_16x16x32_fp8_fp8 v[136:139], a[106:107], a[26:27], v[136:139]// 0000000043EC: D3F30088 1E22356A
	buffer_load_dwordx4 a[60:63], v49, s[84:87], 0 offen offset:1024// 0000000043F4: E05C1400 80953C31
	v_mfma_f32_16x16x32_fp8_fp8 v[136:139], a[108:109], a[28:29], v[136:139]// 0000000043FC: D3F30088 1E22396C
	v_mfma_f32_16x16x32_fp8_fp8 v[136:139], a[110:111], a[30:31], v[136:139]// 000000004404: D3F30088 1E223D6E
	v_mfma_f32_16x16x32_fp8_fp8 v[104:107], a[80:81], a[32:33], v[104:107]// 00000000440C: D3F30068 1DA24150
	v_mfma_f32_16x16x32_fp8_fp8 v[104:107], a[82:83], a[34:35], v[104:107]// 000000004414: D3F30068 1DA24552
	buffer_load_dwordx4 a[64:67], v50, s[84:87], 0 offen       // 00000000441C: E05C1000 80954032
	v_mfma_f32_16x16x32_fp8_fp8 v[104:107], a[84:85], a[36:37], v[104:107]// 000000004424: D3F30068 1DA24954
	v_mfma_f32_16x16x32_fp8_fp8 v[104:107], a[86:87], a[38:39], v[104:107]// 00000000442C: D3F30068 1DA24D56
	v_mfma_f32_16x16x32_fp8_fp8 v[116:119], a[88:89], a[32:33], v[116:119]// 000000004434: D3F30074 1DD24158
	v_mfma_f32_16x16x32_fp8_fp8 v[116:119], a[90:91], a[34:35], v[116:119]// 00000000443C: D3F30074 1DD2455A
	buffer_load_dwordx4 a[68:71], v50, s[84:87], 0 offen offset:1024// 000000004444: E05C1400 80954432
	v_mfma_f32_16x16x32_fp8_fp8 v[116:119], a[92:93], a[36:37], v[116:119]// 00000000444C: D3F30074 1DD2495C
	v_mfma_f32_16x16x32_fp8_fp8 v[116:119], a[94:95], a[38:39], v[116:119]// 000000004454: D3F30074 1DD24D5E
	v_mfma_f32_16x16x32_fp8_fp8 v[128:131], a[96:97], a[32:33], v[128:131]// 00000000445C: D3F30080 1E024160
	v_mfma_f32_16x16x32_fp8_fp8 v[128:131], a[98:99], a[34:35], v[128:131]// 000000004464: D3F30080 1E024562
	buffer_load_dwordx4 a[72:75], v51, s[84:87], 0 offen       // 00000000446C: E05C1000 80954833
	v_mfma_f32_16x16x32_fp8_fp8 v[128:131], a[100:101], a[36:37], v[128:131]// 000000004474: D3F30080 1E024964
	v_mfma_f32_16x16x32_fp8_fp8 v[128:131], a[102:103], a[38:39], v[128:131]// 00000000447C: D3F30080 1E024D66
	v_mfma_f32_16x16x32_fp8_fp8 v[140:143], a[104:105], a[32:33], v[140:143]// 000000004484: D3F3008C 1E324168
	v_mfma_f32_16x16x32_fp8_fp8 v[140:143], a[106:107], a[34:35], v[140:143]// 00000000448C: D3F3008C 1E32456A
	buffer_load_dwordx4 a[76:79], v51, s[84:87], 0 offen offset:1024// 000000004494: E05C1400 80954C33
	v_mfma_f32_16x16x32_fp8_fp8 v[140:143], a[108:109], a[36:37], v[140:143]// 00000000449C: D3F3008C 1E32496C
	v_mfma_f32_16x16x32_fp8_fp8 v[140:143], a[110:111], a[38:39], v[140:143]// 0000000044A4: D3F3008C 1E324D6E
	v_mfma_f32_16x16x32_fp8_fp8 v[108:111], a[80:81], a[40:41], v[108:111]// 0000000044AC: D3F3006C 1DB25150
	v_mfma_f32_16x16x32_fp8_fp8 v[108:111], a[82:83], a[42:43], v[108:111]// 0000000044B4: D3F3006C 1DB25552
	v_mfma_f32_16x16x32_fp8_fp8 v[108:111], a[84:85], a[44:45], v[108:111]// 0000000044BC: D3F3006C 1DB25954
	v_mfma_f32_16x16x32_fp8_fp8 v[108:111], a[86:87], a[46:47], v[108:111]// 0000000044C4: D3F3006C 1DB25D56
	v_mfma_f32_16x16x32_fp8_fp8 v[120:123], a[88:89], a[40:41], v[120:123]// 0000000044CC: D3F30078 1DE25158
	v_mfma_f32_16x16x32_fp8_fp8 v[120:123], a[90:91], a[42:43], v[120:123]// 0000000044D4: D3F30078 1DE2555A
	v_mfma_f32_16x16x32_fp8_fp8 v[120:123], a[92:93], a[44:45], v[120:123]// 0000000044DC: D3F30078 1DE2595C
	v_mfma_f32_16x16x32_fp8_fp8 v[120:123], a[94:95], a[46:47], v[120:123]// 0000000044E4: D3F30078 1DE25D5E
	v_mfma_f32_16x16x32_fp8_fp8 v[132:135], a[96:97], a[40:41], v[132:135]// 0000000044EC: D3F30084 1E125160
	s_add_u32 s60, 0x180, s80                                  // 0000000044F4: 803C50FF 00000180
	s_cmp_lt_u32 s60, s81                                      // 0000000044FC: BF0A513C
	s_cselect_b32 s57, s57, 0                                  // 000000004500: 85398039
	v_mfma_f32_16x16x32_fp8_fp8 v[132:135], a[98:99], a[42:43], v[132:135]// 000000004504: D3F30084 1E125562
	s_add_u32 s60, 0x100, s80                                  // 00000000450C: 803C50FF 00000100
	s_cmp_lt_u32 s60, s81                                      // 000000004514: BF0A513C
	s_cselect_b32 s58, s58, 0                                  // 000000004518: 853A803A
	v_mfma_f32_16x16x32_fp8_fp8 v[132:135], a[100:101], a[44:45], v[132:135]// 00000000451C: D3F30084 1E125964
	s_add_u32 s60, 0x100, s80                                  // 000000004524: 803C50FF 00000100
	s_cmp_lt_u32 s60, s81                                      // 00000000452C: BF0A513C
	s_cselect_b32 s83, s83, 0                                  // 000000004530: 85538053
	v_mfma_f32_16x16x32_fp8_fp8 v[132:135], a[102:103], a[46:47], v[132:135]// 000000004534: D3F30084 1E125D66
	s_add_u32 s24, s58, s24                                    // 00000000453C: 8018183A
	s_addc_u32 s25, 0, s25                                     // 000000004540: 82191980
	v_mfma_f32_16x16x32_fp8_fp8 v[144:147], a[104:105], a[40:41], v[144:147]// 000000004544: D3F30090 1E425168
	s_add_u32 s20, s57, s20                                    // 00000000454C: 80141439
	s_addc_u32 s21, 0, s21                                     // 000000004550: 82151580
	v_mfma_f32_16x16x32_fp8_fp8 v[144:147], a[106:107], a[42:43], v[144:147]// 000000004554: D3F30090 1E42556A
	s_add_u32 s84, s83, s84                                    // 00000000455C: 80545453
	s_addc_u32 s85, 0, s85                                     // 000000004560: 82555580
	v_mfma_f32_16x16x32_fp8_fp8 v[144:147], a[108:109], a[44:45], v[144:147]// 000000004564: D3F30090 1E42596C
	v_mfma_f32_16x16x32_fp8_fp8 v[144:147], a[110:111], a[46:47], v[144:147]// 00000000456C: D3F30090 1E425D6E
	s_addk_i32 s80, 0x80                                       // 000000004574: B7500080
	s_cmp_lt_i32 s80, s81                                      // 000000004578: BF045150
	s_cbranch_scc0 label_0917                                  // 00000000457C: BF840237
	s_waitcnt vmcnt(14) lgkmcnt(0)                             // 000000004580: BF8C007E
	v_mfma_f32_16x16x32_fp8_fp8 v[52:55], a[112:113], a[0:1], v[52:55]// 000000004584: D3F30034 1CD20170
	v_mfma_f32_16x16x32_fp8_fp8 v[52:55], a[114:115], a[2:3], v[52:55]// 00000000458C: D3F30034 1CD20572
	buffer_load_dwordx4 a[80:83], v48, s[24:27], 0 offen       // 000000004594: E05C1000 80865030
	v_mfma_f32_16x16x32_fp8_fp8 v[52:55], a[116:117], a[4:5], v[52:55]// 00000000459C: D3F30034 1CD20974
	v_mfma_f32_16x16x32_fp8_fp8 v[52:55], a[118:119], a[6:7], v[52:55]// 0000000045A4: D3F30034 1CD20D76
	v_mfma_f32_16x16x32_fp8_fp8 v[64:67], a[120:121], a[0:1], v[64:67]// 0000000045AC: D3F30040 1D020178
	v_mfma_f32_16x16x32_fp8_fp8 v[64:67], a[122:123], a[2:3], v[64:67]// 0000000045B4: D3F30040 1D02057A
	buffer_load_dwordx4 a[84:87], v48, s[24:27], 0 offen offset:1024// 0000000045BC: E05C1400 80865430
	v_mfma_f32_16x16x32_fp8_fp8 v[64:67], a[124:125], a[4:5], v[64:67]// 0000000045C4: D3F30040 1D02097C
	v_mfma_f32_16x16x32_fp8_fp8 v[64:67], a[126:127], a[6:7], v[64:67]// 0000000045CC: D3F30040 1D020D7E
	v_mfma_f32_16x16x32_fp8_fp8 v[76:79], a[128:129], a[0:1], v[76:79]// 0000000045D4: D3F3004C 1D320180
	v_mfma_f32_16x16x32_fp8_fp8 v[76:79], a[130:131], a[2:3], v[76:79]// 0000000045DC: D3F3004C 1D320582
	buffer_load_dwordx4 a[88:91], v49, s[24:27], 0 offen       // 0000000045E4: E05C1000 80865831
	v_mfma_f32_16x16x32_fp8_fp8 v[76:79], a[132:133], a[4:5], v[76:79]// 0000000045EC: D3F3004C 1D320984
	v_mfma_f32_16x16x32_fp8_fp8 v[76:79], a[134:135], a[6:7], v[76:79]// 0000000045F4: D3F3004C 1D320D86
	v_mfma_f32_16x16x32_fp8_fp8 v[88:91], a[136:137], a[0:1], v[88:91]// 0000000045FC: D3F30058 1D620188
	v_mfma_f32_16x16x32_fp8_fp8 v[88:91], a[138:139], a[2:3], v[88:91]// 000000004604: D3F30058 1D62058A
	buffer_load_dwordx4 a[92:95], v49, s[24:27], 0 offen offset:1024// 00000000460C: E05C1400 80865C31
	v_mfma_f32_16x16x32_fp8_fp8 v[88:91], a[140:141], a[4:5], v[88:91]// 000000004614: D3F30058 1D62098C
	v_mfma_f32_16x16x32_fp8_fp8 v[88:91], a[142:143], a[6:7], v[88:91]// 00000000461C: D3F30058 1D620D8E
	v_mfma_f32_16x16x32_fp8_fp8 v[56:59], a[112:113], a[8:9], v[56:59]// 000000004624: D3F30038 1CE21170
	v_mfma_f32_16x16x32_fp8_fp8 v[56:59], a[114:115], a[10:11], v[56:59]// 00000000462C: D3F30038 1CE21572
	buffer_load_dwordx4 a[96:99], v50, s[24:27], 0 offen       // 000000004634: E05C1000 80866032
	v_mfma_f32_16x16x32_fp8_fp8 v[56:59], a[116:117], a[12:13], v[56:59]// 00000000463C: D3F30038 1CE21974
	v_mfma_f32_16x16x32_fp8_fp8 v[56:59], a[118:119], a[14:15], v[56:59]// 000000004644: D3F30038 1CE21D76
	v_mfma_f32_16x16x32_fp8_fp8 v[68:71], a[120:121], a[8:9], v[68:71]// 00000000464C: D3F30044 1D121178
	v_mfma_f32_16x16x32_fp8_fp8 v[68:71], a[122:123], a[10:11], v[68:71]// 000000004654: D3F30044 1D12157A
	buffer_load_dwordx4 a[100:103], v50, s[24:27], 0 offen offset:1024// 00000000465C: E05C1400 80866432
	v_mfma_f32_16x16x32_fp8_fp8 v[68:71], a[124:125], a[12:13], v[68:71]// 000000004664: D3F30044 1D12197C
	v_mfma_f32_16x16x32_fp8_fp8 v[68:71], a[126:127], a[14:15], v[68:71]// 00000000466C: D3F30044 1D121D7E
	v_mfma_f32_16x16x32_fp8_fp8 v[80:83], a[128:129], a[8:9], v[80:83]// 000000004674: D3F30050 1D421180
	v_mfma_f32_16x16x32_fp8_fp8 v[80:83], a[130:131], a[10:11], v[80:83]// 00000000467C: D3F30050 1D421582
	buffer_load_dwordx4 a[104:107], v51, s[24:27], 0 offen     // 000000004684: E05C1000 80866833
	v_mfma_f32_16x16x32_fp8_fp8 v[80:83], a[132:133], a[12:13], v[80:83]// 00000000468C: D3F30050 1D421984
	v_mfma_f32_16x16x32_fp8_fp8 v[80:83], a[134:135], a[14:15], v[80:83]// 000000004694: D3F30050 1D421D86
	v_mfma_f32_16x16x32_fp8_fp8 v[92:95], a[136:137], a[8:9], v[92:95]// 00000000469C: D3F3005C 1D721188
	v_mfma_f32_16x16x32_fp8_fp8 v[92:95], a[138:139], a[10:11], v[92:95]// 0000000046A4: D3F3005C 1D72158A
	buffer_load_dwordx4 a[108:111], v51, s[24:27], 0 offen offset:1024// 0000000046AC: E05C1400 80866C33
	buffer_load_dword v42, s[20:23], 0 offen lds               // 0000000046B4: E0511000 8005002A
	s_add_u32 m0, 0x100, s48                                   // 0000000046BC: 807C30FF 00000100
	v_mfma_f32_16x16x32_fp8_fp8 v[92:95], a[140:141], a[12:13], v[92:95]// 0000000046C4: D3F3005C 1D72198C
	v_mfma_f32_16x16x32_fp8_fp8 v[92:95], a[142:143], a[14:15], v[92:95]// 0000000046CC: D3F3005C 1D721D8E
	buffer_load_dword v43, s[20:23], 0 offen lds               // 0000000046D4: E0511000 8005002B
	s_add_u32 m0, 0x200, s48                                   // 0000000046DC: 807C30FF 00000200
	v_mfma_f32_16x16x32_fp8_fp8 v[60:63], a[112:113], a[16:17], v[60:63]// 0000000046E4: D3F3003C 1CF22170
	v_mfma_f32_16x16x32_fp8_fp8 v[60:63], a[114:115], a[18:19], v[60:63]// 0000000046EC: D3F3003C 1CF22572
	buffer_load_dword v44, s[20:23], 0 offen lds               // 0000000046F4: E0511000 8005002C
	s_add_u32 m0, 0x300, s48                                   // 0000000046FC: 807C30FF 00000300
	v_mfma_f32_16x16x32_fp8_fp8 v[60:63], a[116:117], a[20:21], v[60:63]// 000000004704: D3F3003C 1CF22974
	v_mfma_f32_16x16x32_fp8_fp8 v[60:63], a[118:119], a[22:23], v[60:63]// 00000000470C: D3F3003C 1CF22D76
	buffer_load_dword v45, s[20:23], 0 offen lds               // 000000004714: E0511000 8005002D
	s_add_u32 m0, 0x400, s48                                   // 00000000471C: 807C30FF 00000400
	v_mfma_f32_16x16x32_fp8_fp8 v[72:75], a[120:121], a[16:17], v[72:75]// 000000004724: D3F30048 1D222178
	v_mfma_f32_16x16x32_fp8_fp8 v[72:75], a[122:123], a[18:19], v[72:75]// 00000000472C: D3F30048 1D22257A
	buffer_load_dword v46, s[20:23], 0 offen lds               // 000000004734: E0511000 8005002E
	s_add_u32 m0, 0x500, s48                                   // 00000000473C: 807C30FF 00000500
	v_mfma_f32_16x16x32_fp8_fp8 v[72:75], a[124:125], a[20:21], v[72:75]// 000000004744: D3F30048 1D22297C
	v_mfma_f32_16x16x32_fp8_fp8 v[72:75], a[126:127], a[22:23], v[72:75]// 00000000474C: D3F30048 1D222D7E
	buffer_load_dword v47, s[20:23], 0 offen lds               // 000000004754: E0511000 8005002F
	s_add_u32 m0, 0, s49                                       // 00000000475C: 807C3180
	v_mfma_f32_16x16x32_fp8_fp8 v[84:87], a[128:129], a[16:17], v[84:87]// 000000004760: D3F30054 1D522180
	v_mfma_f32_16x16x32_fp8_fp8 v[84:87], a[130:131], a[18:19], v[84:87]// 000000004768: D3F30054 1D522582
	v_mfma_f32_16x16x32_fp8_fp8 v[84:87], a[132:133], a[20:21], v[84:87]// 000000004770: D3F30054 1D522984
	v_mfma_f32_16x16x32_fp8_fp8 v[84:87], a[134:135], a[22:23], v[84:87]// 000000004778: D3F30054 1D522D86
	v_mfma_f32_16x16x32_fp8_fp8 v[96:99], a[136:137], a[16:17], v[96:99]// 000000004780: D3F30060 1D822188
	v_mfma_f32_16x16x32_fp8_fp8 v[96:99], a[138:139], a[18:19], v[96:99]// 000000004788: D3F30060 1D82258A
	v_mfma_f32_16x16x32_fp8_fp8 v[96:99], a[140:141], a[20:21], v[96:99]// 000000004790: D3F30060 1D82298C
	v_mfma_f32_16x16x32_fp8_fp8 v[96:99], a[142:143], a[22:23], v[96:99]// 000000004798: D3F30060 1D822D8E
	s_waitcnt vmcnt(14)                                        // 0000000047A0: BF8C0F7E
	s_barrier                                                  // 0000000047A4: BF8A0000
	v_mfma_f32_16x16x32_fp8_fp8 v[100:103], a[48:49], a[0:1], v[100:103]// 0000000047A8: D3F30064 1D920130
	v_mfma_f32_16x16x32_fp8_fp8 v[100:103], a[50:51], a[2:3], v[100:103]// 0000000047B0: D3F30064 1D920532
	buffer_load_dwordx4 a[112:115], v48, s[84:87], 0 offen     // 0000000047B8: E05C1000 80957030
	v_mfma_f32_16x16x32_fp8_fp8 v[100:103], a[52:53], a[4:5], v[100:103]// 0000000047C0: D3F30064 1D920934
	v_mfma_f32_16x16x32_fp8_fp8 v[100:103], a[54:55], a[6:7], v[100:103]// 0000000047C8: D3F30064 1D920D36
	ds_read_b128 a[24:27], v2 offset:12544                     // 0000000047D0: DBFE3100 18000002
	ds_read_b128 a[28:31], v2 offset:12608                     // 0000000047D8: DBFE3140 1C000002
	v_mfma_f32_16x16x32_fp8_fp8 v[112:115], a[56:57], a[0:1], v[112:115]// 0000000047E0: D3F30070 1DC20138
	v_mfma_f32_16x16x32_fp8_fp8 v[112:115], a[58:59], a[2:3], v[112:115]// 0000000047E8: D3F30070 1DC2053A
	buffer_load_dwordx4 a[116:119], v48, s[84:87], 0 offen offset:1024// 0000000047F0: E05C1400 80957430
	v_mfma_f32_16x16x32_fp8_fp8 v[112:115], a[60:61], a[4:5], v[112:115]// 0000000047F8: D3F30070 1DC2093C
	v_mfma_f32_16x16x32_fp8_fp8 v[112:115], a[62:63], a[6:7], v[112:115]// 000000004800: D3F30070 1DC20D3E
	ds_read_b128 a[32:35], v2 offset:13056                     // 000000004808: DBFE3300 20000002
	ds_read_b128 a[36:39], v2 offset:13120                     // 000000004810: DBFE3340 24000002
	v_mfma_f32_16x16x32_fp8_fp8 v[124:127], a[64:65], a[0:1], v[124:127]// 000000004818: D3F3007C 1DF20140
	v_mfma_f32_16x16x32_fp8_fp8 v[124:127], a[66:67], a[2:3], v[124:127]// 000000004820: D3F3007C 1DF20542
	buffer_load_dwordx4 a[120:123], v49, s[84:87], 0 offen     // 000000004828: E05C1000 80957831
	v_mfma_f32_16x16x32_fp8_fp8 v[124:127], a[68:69], a[4:5], v[124:127]// 000000004830: D3F3007C 1DF20944
	v_mfma_f32_16x16x32_fp8_fp8 v[124:127], a[70:71], a[6:7], v[124:127]// 000000004838: D3F3007C 1DF20D46
	ds_read_b128 a[40:43], v2 offset:13568                     // 000000004840: DBFE3500 28000002
	ds_read_b128 a[44:47], v2 offset:13632                     // 000000004848: DBFE3540 2C000002
	v_mfma_f32_16x16x32_fp8_fp8 v[136:139], a[72:73], a[0:1], v[136:139]// 000000004850: D3F30088 1E220148
	v_mfma_f32_16x16x32_fp8_fp8 v[136:139], a[74:75], a[2:3], v[136:139]// 000000004858: D3F30088 1E22054A
	buffer_load_dwordx4 a[124:127], v49, s[84:87], 0 offen offset:1024// 000000004860: E05C1400 80957C31
	v_mfma_f32_16x16x32_fp8_fp8 v[136:139], a[76:77], a[4:5], v[136:139]// 000000004868: D3F30088 1E22094C
	v_mfma_f32_16x16x32_fp8_fp8 v[136:139], a[78:79], a[6:7], v[136:139]// 000000004870: D3F30088 1E220D4E
	v_mfma_f32_16x16x32_fp8_fp8 v[104:107], a[48:49], a[8:9], v[104:107]// 000000004878: D3F30068 1DA21130
	v_mfma_f32_16x16x32_fp8_fp8 v[104:107], a[50:51], a[10:11], v[104:107]// 000000004880: D3F30068 1DA21532
	buffer_load_dwordx4 a[128:131], v50, s[84:87], 0 offen     // 000000004888: E05C1000 80958032
	v_mfma_f32_16x16x32_fp8_fp8 v[104:107], a[52:53], a[12:13], v[104:107]// 000000004890: D3F30068 1DA21934
	v_mfma_f32_16x16x32_fp8_fp8 v[104:107], a[54:55], a[14:15], v[104:107]// 000000004898: D3F30068 1DA21D36
	v_mfma_f32_16x16x32_fp8_fp8 v[116:119], a[56:57], a[8:9], v[116:119]// 0000000048A0: D3F30074 1DD21138
	v_mfma_f32_16x16x32_fp8_fp8 v[116:119], a[58:59], a[10:11], v[116:119]// 0000000048A8: D3F30074 1DD2153A
	buffer_load_dwordx4 a[132:135], v50, s[84:87], 0 offen offset:1024// 0000000048B0: E05C1400 80958432
	v_mfma_f32_16x16x32_fp8_fp8 v[116:119], a[60:61], a[12:13], v[116:119]// 0000000048B8: D3F30074 1DD2193C
	v_mfma_f32_16x16x32_fp8_fp8 v[116:119], a[62:63], a[14:15], v[116:119]// 0000000048C0: D3F30074 1DD21D3E
	v_mfma_f32_16x16x32_fp8_fp8 v[128:131], a[64:65], a[8:9], v[128:131]// 0000000048C8: D3F30080 1E021140
	v_mfma_f32_16x16x32_fp8_fp8 v[128:131], a[66:67], a[10:11], v[128:131]// 0000000048D0: D3F30080 1E021542
	buffer_load_dwordx4 a[136:139], v51, s[84:87], 0 offen     // 0000000048D8: E05C1000 80958833
	v_mfma_f32_16x16x32_fp8_fp8 v[128:131], a[68:69], a[12:13], v[128:131]// 0000000048E0: D3F30080 1E021944
	v_mfma_f32_16x16x32_fp8_fp8 v[128:131], a[70:71], a[14:15], v[128:131]// 0000000048E8: D3F30080 1E021D46
	v_mfma_f32_16x16x32_fp8_fp8 v[140:143], a[72:73], a[8:9], v[140:143]// 0000000048F0: D3F3008C 1E321148
	v_mfma_f32_16x16x32_fp8_fp8 v[140:143], a[74:75], a[10:11], v[140:143]// 0000000048F8: D3F3008C 1E32154A
	buffer_load_dwordx4 a[140:143], v51, s[84:87], 0 offen offset:1024// 000000004900: E05C1400 80958C33
	v_mfma_f32_16x16x32_fp8_fp8 v[140:143], a[76:77], a[12:13], v[140:143]// 000000004908: D3F3008C 1E32194C
	v_mfma_f32_16x16x32_fp8_fp8 v[140:143], a[78:79], a[14:15], v[140:143]// 000000004910: D3F3008C 1E321D4E
	v_mfma_f32_16x16x32_fp8_fp8 v[108:111], a[48:49], a[16:17], v[108:111]// 000000004918: D3F3006C 1DB22130
	v_mfma_f32_16x16x32_fp8_fp8 v[108:111], a[50:51], a[18:19], v[108:111]// 000000004920: D3F3006C 1DB22532
	v_mfma_f32_16x16x32_fp8_fp8 v[108:111], a[52:53], a[20:21], v[108:111]// 000000004928: D3F3006C 1DB22934
	v_mfma_f32_16x16x32_fp8_fp8 v[108:111], a[54:55], a[22:23], v[108:111]// 000000004930: D3F3006C 1DB22D36
	v_mfma_f32_16x16x32_fp8_fp8 v[120:123], a[56:57], a[16:17], v[120:123]// 000000004938: D3F30078 1DE22138
	v_mfma_f32_16x16x32_fp8_fp8 v[120:123], a[58:59], a[18:19], v[120:123]// 000000004940: D3F30078 1DE2253A
	v_mfma_f32_16x16x32_fp8_fp8 v[120:123], a[60:61], a[20:21], v[120:123]// 000000004948: D3F30078 1DE2293C
	v_mfma_f32_16x16x32_fp8_fp8 v[120:123], a[62:63], a[22:23], v[120:123]// 000000004950: D3F30078 1DE22D3E
	v_mfma_f32_16x16x32_fp8_fp8 v[132:135], a[64:65], a[16:17], v[132:135]// 000000004958: D3F30084 1E122140
	s_add_u32 s60, 0x180, s80                                  // 000000004960: 803C50FF 00000180
	s_cmp_lt_u32 s60, s81                                      // 000000004968: BF0A513C
	s_cselect_b32 s57, s57, 0                                  // 00000000496C: 85398039
	v_mfma_f32_16x16x32_fp8_fp8 v[132:135], a[66:67], a[18:19], v[132:135]// 000000004970: D3F30084 1E122542
	s_add_u32 s60, 0x100, s80                                  // 000000004978: 803C50FF 00000100
	s_cmp_lt_u32 s60, s81                                      // 000000004980: BF0A513C
	s_cselect_b32 s58, s58, 0                                  // 000000004984: 853A803A
	v_mfma_f32_16x16x32_fp8_fp8 v[132:135], a[68:69], a[20:21], v[132:135]// 000000004988: D3F30084 1E122944
	s_add_u32 s60, 0x100, s80                                  // 000000004990: 803C50FF 00000100
	s_cmp_lt_u32 s60, s81                                      // 000000004998: BF0A513C
	s_cselect_b32 s83, s83, 0                                  // 00000000499C: 85538053
	v_mfma_f32_16x16x32_fp8_fp8 v[132:135], a[70:71], a[22:23], v[132:135]// 0000000049A0: D3F30084 1E122D46
	s_add_u32 s24, s58, s24                                    // 0000000049A8: 8018183A
	s_addc_u32 s25, 0, s25                                     // 0000000049AC: 82191980
	v_mfma_f32_16x16x32_fp8_fp8 v[144:147], a[72:73], a[16:17], v[144:147]// 0000000049B0: D3F30090 1E422148
	s_add_u32 s20, s57, s20                                    // 0000000049B8: 80141439
	s_addc_u32 s21, 0, s21                                     // 0000000049BC: 82151580
	v_mfma_f32_16x16x32_fp8_fp8 v[144:147], a[74:75], a[18:19], v[144:147]// 0000000049C0: D3F30090 1E42254A
	s_add_u32 s84, s83, s84                                    // 0000000049C8: 80545453
	s_addc_u32 s85, 0, s85                                     // 0000000049CC: 82555580
	v_mfma_f32_16x16x32_fp8_fp8 v[144:147], a[76:77], a[20:21], v[144:147]// 0000000049D0: D3F30090 1E42294C
	v_mfma_f32_16x16x32_fp8_fp8 v[144:147], a[78:79], a[22:23], v[144:147]// 0000000049D8: D3F30090 1E422D4E
	s_addk_i32 s80, 0x80                                       // 0000000049E0: B7500080
	s_cmp_lt_i32 s80, s81                                      // 0000000049E4: BF045150
	s_cbranch_scc0 label_0917                                  // 0000000049E8: BF84011C
	s_waitcnt vmcnt(14) lgkmcnt(0)                             // 0000000049EC: BF8C007E
	v_mfma_f32_16x16x32_fp8_fp8 v[52:55], a[80:81], a[24:25], v[52:55]// 0000000049F0: D3F30034 1CD23150
	v_mfma_f32_16x16x32_fp8_fp8 v[52:55], a[82:83], a[26:27], v[52:55]// 0000000049F8: D3F30034 1CD23552
	buffer_load_dwordx4 a[48:51], v48, s[24:27], 0 offen       // 000000004A00: E05C1000 80863030
	v_mfma_f32_16x16x32_fp8_fp8 v[52:55], a[84:85], a[28:29], v[52:55]// 000000004A08: D3F30034 1CD23954
	v_mfma_f32_16x16x32_fp8_fp8 v[52:55], a[86:87], a[30:31], v[52:55]// 000000004A10: D3F30034 1CD23D56
	v_mfma_f32_16x16x32_fp8_fp8 v[64:67], a[88:89], a[24:25], v[64:67]// 000000004A18: D3F30040 1D023158
	v_mfma_f32_16x16x32_fp8_fp8 v[64:67], a[90:91], a[26:27], v[64:67]// 000000004A20: D3F30040 1D02355A
	buffer_load_dwordx4 a[52:55], v48, s[24:27], 0 offen offset:1024// 000000004A28: E05C1400 80863430
	v_mfma_f32_16x16x32_fp8_fp8 v[64:67], a[92:93], a[28:29], v[64:67]// 000000004A30: D3F30040 1D02395C
	v_mfma_f32_16x16x32_fp8_fp8 v[64:67], a[94:95], a[30:31], v[64:67]// 000000004A38: D3F30040 1D023D5E
	v_mfma_f32_16x16x32_fp8_fp8 v[76:79], a[96:97], a[24:25], v[76:79]// 000000004A40: D3F3004C 1D323160
	v_mfma_f32_16x16x32_fp8_fp8 v[76:79], a[98:99], a[26:27], v[76:79]// 000000004A48: D3F3004C 1D323562
	buffer_load_dwordx4 a[56:59], v49, s[24:27], 0 offen       // 000000004A50: E05C1000 80863831
	v_mfma_f32_16x16x32_fp8_fp8 v[76:79], a[100:101], a[28:29], v[76:79]// 000000004A58: D3F3004C 1D323964
	v_mfma_f32_16x16x32_fp8_fp8 v[76:79], a[102:103], a[30:31], v[76:79]// 000000004A60: D3F3004C 1D323D66
	v_mfma_f32_16x16x32_fp8_fp8 v[88:91], a[104:105], a[24:25], v[88:91]// 000000004A68: D3F30058 1D623168
	v_mfma_f32_16x16x32_fp8_fp8 v[88:91], a[106:107], a[26:27], v[88:91]// 000000004A70: D3F30058 1D62356A
	buffer_load_dwordx4 a[60:63], v49, s[24:27], 0 offen offset:1024// 000000004A78: E05C1400 80863C31
	v_mfma_f32_16x16x32_fp8_fp8 v[88:91], a[108:109], a[28:29], v[88:91]// 000000004A80: D3F30058 1D62396C
	v_mfma_f32_16x16x32_fp8_fp8 v[88:91], a[110:111], a[30:31], v[88:91]// 000000004A88: D3F30058 1D623D6E
	v_mfma_f32_16x16x32_fp8_fp8 v[56:59], a[80:81], a[32:33], v[56:59]// 000000004A90: D3F30038 1CE24150
	v_mfma_f32_16x16x32_fp8_fp8 v[56:59], a[82:83], a[34:35], v[56:59]// 000000004A98: D3F30038 1CE24552
	buffer_load_dwordx4 a[64:67], v50, s[24:27], 0 offen       // 000000004AA0: E05C1000 80864032
	v_mfma_f32_16x16x32_fp8_fp8 v[56:59], a[84:85], a[36:37], v[56:59]// 000000004AA8: D3F30038 1CE24954
	v_mfma_f32_16x16x32_fp8_fp8 v[56:59], a[86:87], a[38:39], v[56:59]// 000000004AB0: D3F30038 1CE24D56
	v_mfma_f32_16x16x32_fp8_fp8 v[68:71], a[88:89], a[32:33], v[68:71]// 000000004AB8: D3F30044 1D124158
	v_mfma_f32_16x16x32_fp8_fp8 v[68:71], a[90:91], a[34:35], v[68:71]// 000000004AC0: D3F30044 1D12455A
	buffer_load_dwordx4 a[68:71], v50, s[24:27], 0 offen offset:1024// 000000004AC8: E05C1400 80864432
	v_mfma_f32_16x16x32_fp8_fp8 v[68:71], a[92:93], a[36:37], v[68:71]// 000000004AD0: D3F30044 1D12495C
	v_mfma_f32_16x16x32_fp8_fp8 v[68:71], a[94:95], a[38:39], v[68:71]// 000000004AD8: D3F30044 1D124D5E
	v_mfma_f32_16x16x32_fp8_fp8 v[80:83], a[96:97], a[32:33], v[80:83]// 000000004AE0: D3F30050 1D424160
	v_mfma_f32_16x16x32_fp8_fp8 v[80:83], a[98:99], a[34:35], v[80:83]// 000000004AE8: D3F30050 1D424562
	buffer_load_dwordx4 a[72:75], v51, s[24:27], 0 offen       // 000000004AF0: E05C1000 80864833
	v_mfma_f32_16x16x32_fp8_fp8 v[80:83], a[100:101], a[36:37], v[80:83]// 000000004AF8: D3F30050 1D424964
	v_mfma_f32_16x16x32_fp8_fp8 v[80:83], a[102:103], a[38:39], v[80:83]// 000000004B00: D3F30050 1D424D66
	v_mfma_f32_16x16x32_fp8_fp8 v[92:95], a[104:105], a[32:33], v[92:95]// 000000004B08: D3F3005C 1D724168
	v_mfma_f32_16x16x32_fp8_fp8 v[92:95], a[106:107], a[34:35], v[92:95]// 000000004B10: D3F3005C 1D72456A
	buffer_load_dwordx4 a[76:79], v51, s[24:27], 0 offen offset:1024// 000000004B18: E05C1400 80864C33
	buffer_load_dword v42, s[20:23], 0 offen lds               // 000000004B20: E0511000 8005002A
	s_add_u32 m0, 0x100, s49                                   // 000000004B28: 807C31FF 00000100
	v_mfma_f32_16x16x32_fp8_fp8 v[92:95], a[108:109], a[36:37], v[92:95]// 000000004B30: D3F3005C 1D72496C
	v_mfma_f32_16x16x32_fp8_fp8 v[92:95], a[110:111], a[38:39], v[92:95]// 000000004B38: D3F3005C 1D724D6E
	buffer_load_dword v43, s[20:23], 0 offen lds               // 000000004B40: E0511000 8005002B
	s_add_u32 m0, 0x200, s49                                   // 000000004B48: 807C31FF 00000200
	v_mfma_f32_16x16x32_fp8_fp8 v[60:63], a[80:81], a[40:41], v[60:63]// 000000004B50: D3F3003C 1CF25150
	v_mfma_f32_16x16x32_fp8_fp8 v[60:63], a[82:83], a[42:43], v[60:63]// 000000004B58: D3F3003C 1CF25552
	buffer_load_dword v44, s[20:23], 0 offen lds               // 000000004B60: E0511000 8005002C
	s_add_u32 m0, 0x300, s49                                   // 000000004B68: 807C31FF 00000300
	v_mfma_f32_16x16x32_fp8_fp8 v[60:63], a[84:85], a[44:45], v[60:63]// 000000004B70: D3F3003C 1CF25954
	v_mfma_f32_16x16x32_fp8_fp8 v[60:63], a[86:87], a[46:47], v[60:63]// 000000004B78: D3F3003C 1CF25D56
	buffer_load_dword v45, s[20:23], 0 offen lds               // 000000004B80: E0511000 8005002D
	s_add_u32 m0, 0x400, s49                                   // 000000004B88: 807C31FF 00000400
	v_mfma_f32_16x16x32_fp8_fp8 v[72:75], a[88:89], a[40:41], v[72:75]// 000000004B90: D3F30048 1D225158
	v_mfma_f32_16x16x32_fp8_fp8 v[72:75], a[90:91], a[42:43], v[72:75]// 000000004B98: D3F30048 1D22555A
	buffer_load_dword v46, s[20:23], 0 offen lds               // 000000004BA0: E0511000 8005002E
	s_add_u32 m0, 0x500, s49                                   // 000000004BA8: 807C31FF 00000500
	v_mfma_f32_16x16x32_fp8_fp8 v[72:75], a[92:93], a[44:45], v[72:75]// 000000004BB0: D3F30048 1D22595C
	v_mfma_f32_16x16x32_fp8_fp8 v[72:75], a[94:95], a[46:47], v[72:75]// 000000004BB8: D3F30048 1D225D5E
	buffer_load_dword v47, s[20:23], 0 offen lds               // 000000004BC0: E0511000 8005002F
	s_add_u32 m0, 0, s50                                       // 000000004BC8: 807C3280
	v_mfma_f32_16x16x32_fp8_fp8 v[84:87], a[96:97], a[40:41], v[84:87]// 000000004BCC: D3F30054 1D525160
	v_mfma_f32_16x16x32_fp8_fp8 v[84:87], a[98:99], a[42:43], v[84:87]// 000000004BD4: D3F30054 1D525562
	v_mfma_f32_16x16x32_fp8_fp8 v[84:87], a[100:101], a[44:45], v[84:87]// 000000004BDC: D3F30054 1D525964
	v_mfma_f32_16x16x32_fp8_fp8 v[84:87], a[102:103], a[46:47], v[84:87]// 000000004BE4: D3F30054 1D525D66
	v_mfma_f32_16x16x32_fp8_fp8 v[96:99], a[104:105], a[40:41], v[96:99]// 000000004BEC: D3F30060 1D825168
	v_mfma_f32_16x16x32_fp8_fp8 v[96:99], a[106:107], a[42:43], v[96:99]// 000000004BF4: D3F30060 1D82556A
	v_mfma_f32_16x16x32_fp8_fp8 v[96:99], a[108:109], a[44:45], v[96:99]// 000000004BFC: D3F30060 1D82596C
	v_mfma_f32_16x16x32_fp8_fp8 v[96:99], a[110:111], a[46:47], v[96:99]// 000000004C04: D3F30060 1D825D6E
	s_waitcnt vmcnt(14)                                        // 000000004C0C: BF8C0F7E
	s_barrier                                                  // 000000004C10: BF8A0000
	v_mfma_f32_16x16x32_fp8_fp8 v[100:103], a[112:113], a[24:25], v[100:103]// 000000004C14: D3F30064 1D923170
	v_mfma_f32_16x16x32_fp8_fp8 v[100:103], a[114:115], a[26:27], v[100:103]// 000000004C1C: D3F30064 1D923572
	buffer_load_dwordx4 a[80:83], v48, s[84:87], 0 offen       // 000000004C24: E05C1000 80955030
	v_mfma_f32_16x16x32_fp8_fp8 v[100:103], a[116:117], a[28:29], v[100:103]// 000000004C2C: D3F30064 1D923974
	v_mfma_f32_16x16x32_fp8_fp8 v[100:103], a[118:119], a[30:31], v[100:103]// 000000004C34: D3F30064 1D923D76
	ds_read_b128 a[0:3], v2                                    // 000000004C3C: DBFE0000 00000002
	ds_read_b128 a[4:7], v2 offset:64                          // 000000004C44: DBFE0040 04000002
	v_mfma_f32_16x16x32_fp8_fp8 v[112:115], a[120:121], a[24:25], v[112:115]// 000000004C4C: D3F30070 1DC23178
	v_mfma_f32_16x16x32_fp8_fp8 v[112:115], a[122:123], a[26:27], v[112:115]// 000000004C54: D3F30070 1DC2357A
	buffer_load_dwordx4 a[84:87], v48, s[84:87], 0 offen offset:1024// 000000004C5C: E05C1400 80955430
	v_mfma_f32_16x16x32_fp8_fp8 v[112:115], a[124:125], a[28:29], v[112:115]// 000000004C64: D3F30070 1DC2397C
	v_mfma_f32_16x16x32_fp8_fp8 v[112:115], a[126:127], a[30:31], v[112:115]// 000000004C6C: D3F30070 1DC23D7E
	ds_read_b128 a[8:11], v2 offset:512                        // 000000004C74: DBFE0200 08000002
	ds_read_b128 a[12:15], v2 offset:576                       // 000000004C7C: DBFE0240 0C000002
	v_mfma_f32_16x16x32_fp8_fp8 v[124:127], a[128:129], a[24:25], v[124:127]// 000000004C84: D3F3007C 1DF23180
	v_mfma_f32_16x16x32_fp8_fp8 v[124:127], a[130:131], a[26:27], v[124:127]// 000000004C8C: D3F3007C 1DF23582
	buffer_load_dwordx4 a[88:91], v49, s[84:87], 0 offen       // 000000004C94: E05C1000 80955831
	v_mfma_f32_16x16x32_fp8_fp8 v[124:127], a[132:133], a[28:29], v[124:127]// 000000004C9C: D3F3007C 1DF23984
	v_mfma_f32_16x16x32_fp8_fp8 v[124:127], a[134:135], a[30:31], v[124:127]// 000000004CA4: D3F3007C 1DF23D86
	ds_read_b128 a[16:19], v2 offset:1024                      // 000000004CAC: DBFE0400 10000002
	ds_read_b128 a[20:23], v2 offset:1088                      // 000000004CB4: DBFE0440 14000002
	v_mfma_f32_16x16x32_fp8_fp8 v[136:139], a[136:137], a[24:25], v[136:139]// 000000004CBC: D3F30088 1E223188
	v_mfma_f32_16x16x32_fp8_fp8 v[136:139], a[138:139], a[26:27], v[136:139]// 000000004CC4: D3F30088 1E22358A
	buffer_load_dwordx4 a[92:95], v49, s[84:87], 0 offen offset:1024// 000000004CCC: E05C1400 80955C31
	v_mfma_f32_16x16x32_fp8_fp8 v[136:139], a[140:141], a[28:29], v[136:139]// 000000004CD4: D3F30088 1E22398C
	v_mfma_f32_16x16x32_fp8_fp8 v[136:139], a[142:143], a[30:31], v[136:139]// 000000004CDC: D3F30088 1E223D8E
	v_mfma_f32_16x16x32_fp8_fp8 v[104:107], a[112:113], a[32:33], v[104:107]// 000000004CE4: D3F30068 1DA24170
	v_mfma_f32_16x16x32_fp8_fp8 v[104:107], a[114:115], a[34:35], v[104:107]// 000000004CEC: D3F30068 1DA24572
	buffer_load_dwordx4 a[96:99], v50, s[84:87], 0 offen       // 000000004CF4: E05C1000 80956032
	v_mfma_f32_16x16x32_fp8_fp8 v[104:107], a[116:117], a[36:37], v[104:107]// 000000004CFC: D3F30068 1DA24974
	v_mfma_f32_16x16x32_fp8_fp8 v[104:107], a[118:119], a[38:39], v[104:107]// 000000004D04: D3F30068 1DA24D76
	v_mfma_f32_16x16x32_fp8_fp8 v[116:119], a[120:121], a[32:33], v[116:119]// 000000004D0C: D3F30074 1DD24178
	v_mfma_f32_16x16x32_fp8_fp8 v[116:119], a[122:123], a[34:35], v[116:119]// 000000004D14: D3F30074 1DD2457A
	buffer_load_dwordx4 a[100:103], v50, s[84:87], 0 offen offset:1024// 000000004D1C: E05C1400 80956432
	v_mfma_f32_16x16x32_fp8_fp8 v[116:119], a[124:125], a[36:37], v[116:119]// 000000004D24: D3F30074 1DD2497C
	v_mfma_f32_16x16x32_fp8_fp8 v[116:119], a[126:127], a[38:39], v[116:119]// 000000004D2C: D3F30074 1DD24D7E
	v_mfma_f32_16x16x32_fp8_fp8 v[128:131], a[128:129], a[32:33], v[128:131]// 000000004D34: D3F30080 1E024180
	v_mfma_f32_16x16x32_fp8_fp8 v[128:131], a[130:131], a[34:35], v[128:131]// 000000004D3C: D3F30080 1E024582
	buffer_load_dwordx4 a[104:107], v51, s[84:87], 0 offen     // 000000004D44: E05C1000 80956833
	v_mfma_f32_16x16x32_fp8_fp8 v[128:131], a[132:133], a[36:37], v[128:131]// 000000004D4C: D3F30080 1E024984
	v_mfma_f32_16x16x32_fp8_fp8 v[128:131], a[134:135], a[38:39], v[128:131]// 000000004D54: D3F30080 1E024D86
	v_mfma_f32_16x16x32_fp8_fp8 v[140:143], a[136:137], a[32:33], v[140:143]// 000000004D5C: D3F3008C 1E324188
	v_mfma_f32_16x16x32_fp8_fp8 v[140:143], a[138:139], a[34:35], v[140:143]// 000000004D64: D3F3008C 1E32458A
	buffer_load_dwordx4 a[108:111], v51, s[84:87], 0 offen offset:1024// 000000004D6C: E05C1400 80956C33
	v_mfma_f32_16x16x32_fp8_fp8 v[140:143], a[140:141], a[36:37], v[140:143]// 000000004D74: D3F3008C 1E32498C
	v_mfma_f32_16x16x32_fp8_fp8 v[140:143], a[142:143], a[38:39], v[140:143]// 000000004D7C: D3F3008C 1E324D8E
	v_mfma_f32_16x16x32_fp8_fp8 v[108:111], a[112:113], a[40:41], v[108:111]// 000000004D84: D3F3006C 1DB25170
	v_mfma_f32_16x16x32_fp8_fp8 v[108:111], a[114:115], a[42:43], v[108:111]// 000000004D8C: D3F3006C 1DB25572
	v_mfma_f32_16x16x32_fp8_fp8 v[108:111], a[116:117], a[44:45], v[108:111]// 000000004D94: D3F3006C 1DB25974
	v_mfma_f32_16x16x32_fp8_fp8 v[108:111], a[118:119], a[46:47], v[108:111]// 000000004D9C: D3F3006C 1DB25D76
	v_mfma_f32_16x16x32_fp8_fp8 v[120:123], a[120:121], a[40:41], v[120:123]// 000000004DA4: D3F30078 1DE25178
	v_mfma_f32_16x16x32_fp8_fp8 v[120:123], a[122:123], a[42:43], v[120:123]// 000000004DAC: D3F30078 1DE2557A
	v_mfma_f32_16x16x32_fp8_fp8 v[120:123], a[124:125], a[44:45], v[120:123]// 000000004DB4: D3F30078 1DE2597C
	v_mfma_f32_16x16x32_fp8_fp8 v[120:123], a[126:127], a[46:47], v[120:123]// 000000004DBC: D3F30078 1DE25D7E
	v_mfma_f32_16x16x32_fp8_fp8 v[132:135], a[128:129], a[40:41], v[132:135]// 000000004DC4: D3F30084 1E125180
	s_add_u32 s60, 0x180, s80                                  // 000000004DCC: 803C50FF 00000180
	s_cmp_lt_u32 s60, s81                                      // 000000004DD4: BF0A513C
	s_cselect_b32 s57, s57, 0                                  // 000000004DD8: 85398039
	v_mfma_f32_16x16x32_fp8_fp8 v[132:135], a[130:131], a[42:43], v[132:135]// 000000004DDC: D3F30084 1E125582
	s_add_u32 s60, 0x100, s80                                  // 000000004DE4: 803C50FF 00000100
	s_cmp_lt_u32 s60, s81                                      // 000000004DEC: BF0A513C
	s_cselect_b32 s58, s58, 0                                  // 000000004DF0: 853A803A
	v_mfma_f32_16x16x32_fp8_fp8 v[132:135], a[132:133], a[44:45], v[132:135]// 000000004DF4: D3F30084 1E125984
	s_add_u32 s60, 0x100, s80                                  // 000000004DFC: 803C50FF 00000100
	s_cmp_lt_u32 s60, s81                                      // 000000004E04: BF0A513C
	s_cselect_b32 s83, s83, 0                                  // 000000004E08: 85538053
	v_mfma_f32_16x16x32_fp8_fp8 v[132:135], a[134:135], a[46:47], v[132:135]// 000000004E0C: D3F30084 1E125D86
	s_add_u32 s24, s58, s24                                    // 000000004E14: 8018183A
	s_addc_u32 s25, 0, s25                                     // 000000004E18: 82191980
	v_mfma_f32_16x16x32_fp8_fp8 v[144:147], a[136:137], a[40:41], v[144:147]// 000000004E1C: D3F30090 1E425188
	s_add_u32 s20, s57, s20                                    // 000000004E24: 80141439
	s_addc_u32 s21, 0, s21                                     // 000000004E28: 82151580
	v_mfma_f32_16x16x32_fp8_fp8 v[144:147], a[138:139], a[42:43], v[144:147]// 000000004E2C: D3F30090 1E42558A
	s_add_u32 s84, s83, s84                                    // 000000004E34: 80545453
	s_addc_u32 s85, 0, s85                                     // 000000004E38: 82555580
	v_mfma_f32_16x16x32_fp8_fp8 v[144:147], a[140:141], a[44:45], v[144:147]// 000000004E3C: D3F30090 1E42598C
	v_mfma_f32_16x16x32_fp8_fp8 v[144:147], a[142:143], a[46:47], v[144:147]// 000000004E44: D3F30090 1E425D8E
	s_addk_i32 s80, 0x80                                       // 000000004E4C: B7500080
	s_cmp_lt_i32 s80, s81                                      // 000000004E50: BF045150
	s_cbranch_scc0 label_0917                                  // 000000004E54: BF840001
	s_branch label_0274                                        // 000000004E58: BF82F95D

0000000000004e5c <label_0917>:
	v_mul_f32_dpp v52, v24, v52 row_newbcast:0 row_mask:0xf bank_mask:0xf// 000000004E5C: 0A6868FA FF015018
	v_mul_f32_dpp v53, v24, v53 row_newbcast:1 row_mask:0xf bank_mask:0xf// 000000004E64: 0A6A6AFA FF015118
	v_mul_f32_dpp v54, v24, v54 row_newbcast:2 row_mask:0xf bank_mask:0xf// 000000004E6C: 0A6C6CFA FF015218
	v_mul_f32_dpp v55, v24, v55 row_newbcast:3 row_mask:0xf bank_mask:0xf// 000000004E74: 0A6E6EFA FF015318
	v_mul_f32_dpp v56, v24, v56 row_newbcast:0 row_mask:0xf bank_mask:0xf// 000000004E7C: 0A7070FA FF015018
	v_mul_f32_dpp v57, v24, v57 row_newbcast:1 row_mask:0xf bank_mask:0xf// 000000004E84: 0A7272FA FF015118
	v_mul_f32_dpp v58, v24, v58 row_newbcast:2 row_mask:0xf bank_mask:0xf// 000000004E8C: 0A7474FA FF015218
	v_mul_f32_dpp v59, v24, v59 row_newbcast:3 row_mask:0xf bank_mask:0xf// 000000004E94: 0A7676FA FF015318
	v_mul_f32_dpp v60, v24, v60 row_newbcast:0 row_mask:0xf bank_mask:0xf// 000000004E9C: 0A7878FA FF015018
	v_mul_f32_dpp v61, v24, v61 row_newbcast:1 row_mask:0xf bank_mask:0xf// 000000004EA4: 0A7A7AFA FF015118
	v_mul_f32_dpp v62, v24, v62 row_newbcast:2 row_mask:0xf bank_mask:0xf// 000000004EAC: 0A7C7CFA FF015218
	v_mul_f32_dpp v63, v24, v63 row_newbcast:3 row_mask:0xf bank_mask:0xf// 000000004EB4: 0A7E7EFA FF015318
	v_mul_f32_dpp v64, v24, v64 row_newbcast:4 row_mask:0xf bank_mask:0xf// 000000004EBC: 0A8080FA FF015418
	v_mul_f32_dpp v65, v24, v65 row_newbcast:5 row_mask:0xf bank_mask:0xf// 000000004EC4: 0A8282FA FF015518
	v_mul_f32_dpp v66, v24, v66 row_newbcast:6 row_mask:0xf bank_mask:0xf// 000000004ECC: 0A8484FA FF015618
	v_mul_f32_dpp v67, v24, v67 row_newbcast:7 row_mask:0xf bank_mask:0xf// 000000004ED4: 0A8686FA FF015718
	v_mul_f32_dpp v68, v24, v68 row_newbcast:4 row_mask:0xf bank_mask:0xf// 000000004EDC: 0A8888FA FF015418
	v_mul_f32_dpp v69, v24, v69 row_newbcast:5 row_mask:0xf bank_mask:0xf// 000000004EE4: 0A8A8AFA FF015518
	v_mul_f32_dpp v70, v24, v70 row_newbcast:6 row_mask:0xf bank_mask:0xf// 000000004EEC: 0A8C8CFA FF015618
	v_mul_f32_dpp v71, v24, v71 row_newbcast:7 row_mask:0xf bank_mask:0xf// 000000004EF4: 0A8E8EFA FF015718
	v_mul_f32_dpp v72, v24, v72 row_newbcast:4 row_mask:0xf bank_mask:0xf// 000000004EFC: 0A9090FA FF015418
	v_mul_f32_dpp v73, v24, v73 row_newbcast:5 row_mask:0xf bank_mask:0xf// 000000004F04: 0A9292FA FF015518
	v_mul_f32_dpp v74, v24, v74 row_newbcast:6 row_mask:0xf bank_mask:0xf// 000000004F0C: 0A9494FA FF015618
	v_mul_f32_dpp v75, v24, v75 row_newbcast:7 row_mask:0xf bank_mask:0xf// 000000004F14: 0A9696FA FF015718
	v_mul_f32_dpp v76, v24, v76 row_newbcast:8 row_mask:0xf bank_mask:0xf// 000000004F1C: 0A9898FA FF015818
	v_mul_f32_dpp v77, v24, v77 row_newbcast:9 row_mask:0xf bank_mask:0xf// 000000004F24: 0A9A9AFA FF015918
	v_mul_f32_dpp v78, v24, v78 row_newbcast:10 row_mask:0xf bank_mask:0xf// 000000004F2C: 0A9C9CFA FF015A18
	v_mul_f32_dpp v79, v24, v79 row_newbcast:11 row_mask:0xf bank_mask:0xf// 000000004F34: 0A9E9EFA FF015B18
	v_mul_f32_dpp v80, v24, v80 row_newbcast:8 row_mask:0xf bank_mask:0xf// 000000004F3C: 0AA0A0FA FF015818
	v_mul_f32_dpp v81, v24, v81 row_newbcast:9 row_mask:0xf bank_mask:0xf// 000000004F44: 0AA2A2FA FF015918
	v_mul_f32_dpp v82, v24, v82 row_newbcast:10 row_mask:0xf bank_mask:0xf// 000000004F4C: 0AA4A4FA FF015A18
	v_mul_f32_dpp v83, v24, v83 row_newbcast:11 row_mask:0xf bank_mask:0xf// 000000004F54: 0AA6A6FA FF015B18
	v_mul_f32_dpp v84, v24, v84 row_newbcast:8 row_mask:0xf bank_mask:0xf// 000000004F5C: 0AA8A8FA FF015818
	v_mul_f32_dpp v85, v24, v85 row_newbcast:9 row_mask:0xf bank_mask:0xf// 000000004F64: 0AAAAAFA FF015918
	v_mul_f32_dpp v86, v24, v86 row_newbcast:10 row_mask:0xf bank_mask:0xf// 000000004F6C: 0AACACFA FF015A18
	v_mul_f32_dpp v87, v24, v87 row_newbcast:11 row_mask:0xf bank_mask:0xf// 000000004F74: 0AAEAEFA FF015B18
	v_mul_f32_dpp v88, v24, v88 row_newbcast:12 row_mask:0xf bank_mask:0xf// 000000004F7C: 0AB0B0FA FF015C18
	v_mul_f32_dpp v89, v24, v89 row_newbcast:13 row_mask:0xf bank_mask:0xf// 000000004F84: 0AB2B2FA FF015D18
	v_mul_f32_dpp v90, v24, v90 row_newbcast:14 row_mask:0xf bank_mask:0xf// 000000004F8C: 0AB4B4FA FF015E18
	v_mul_f32_dpp v91, v24, v91 row_newbcast:15 row_mask:0xf bank_mask:0xf// 000000004F94: 0AB6B6FA FF015F18
	v_mul_f32_dpp v92, v24, v92 row_newbcast:12 row_mask:0xf bank_mask:0xf// 000000004F9C: 0AB8B8FA FF015C18
	v_mul_f32_dpp v93, v24, v93 row_newbcast:13 row_mask:0xf bank_mask:0xf// 000000004FA4: 0ABABAFA FF015D18
	v_mul_f32_dpp v94, v24, v94 row_newbcast:14 row_mask:0xf bank_mask:0xf// 000000004FAC: 0ABCBCFA FF015E18
	v_mul_f32_dpp v95, v24, v95 row_newbcast:15 row_mask:0xf bank_mask:0xf// 000000004FB4: 0ABEBEFA FF015F18
	v_mul_f32_dpp v96, v24, v96 row_newbcast:12 row_mask:0xf bank_mask:0xf// 000000004FBC: 0AC0C0FA FF015C18
	v_mul_f32_dpp v97, v24, v97 row_newbcast:13 row_mask:0xf bank_mask:0xf// 000000004FC4: 0AC2C2FA FF015D18
	v_mul_f32_dpp v98, v24, v98 row_newbcast:14 row_mask:0xf bank_mask:0xf// 000000004FCC: 0AC4C4FA FF015E18
	v_mul_f32_dpp v99, v24, v99 row_newbcast:15 row_mask:0xf bank_mask:0xf// 000000004FD4: 0AC6C6FA FF015F18
	v_mul_f32_dpp v100, v27, v100 row_newbcast:0 row_mask:0xf bank_mask:0xf// 000000004FDC: 0AC8C8FA FF01501B
	v_mul_f32_dpp v101, v27, v101 row_newbcast:1 row_mask:0xf bank_mask:0xf// 000000004FE4: 0ACACAFA FF01511B
	v_mul_f32_dpp v102, v27, v102 row_newbcast:2 row_mask:0xf bank_mask:0xf// 000000004FEC: 0ACCCCFA FF01521B
	v_mul_f32_dpp v103, v27, v103 row_newbcast:3 row_mask:0xf bank_mask:0xf// 000000004FF4: 0ACECEFA FF01531B
	v_mul_f32_dpp v104, v27, v104 row_newbcast:0 row_mask:0xf bank_mask:0xf// 000000004FFC: 0AD0D0FA FF01501B
	v_mul_f32_dpp v105, v27, v105 row_newbcast:1 row_mask:0xf bank_mask:0xf// 000000005004: 0AD2D2FA FF01511B
	v_mul_f32_dpp v106, v27, v106 row_newbcast:2 row_mask:0xf bank_mask:0xf// 00000000500C: 0AD4D4FA FF01521B
	v_mul_f32_dpp v107, v27, v107 row_newbcast:3 row_mask:0xf bank_mask:0xf// 000000005014: 0AD6D6FA FF01531B
	v_mul_f32_dpp v108, v27, v108 row_newbcast:0 row_mask:0xf bank_mask:0xf// 00000000501C: 0AD8D8FA FF01501B
	v_mul_f32_dpp v109, v27, v109 row_newbcast:1 row_mask:0xf bank_mask:0xf// 000000005024: 0ADADAFA FF01511B
	v_mul_f32_dpp v110, v27, v110 row_newbcast:2 row_mask:0xf bank_mask:0xf// 00000000502C: 0ADCDCFA FF01521B
	v_mul_f32_dpp v111, v27, v111 row_newbcast:3 row_mask:0xf bank_mask:0xf// 000000005034: 0ADEDEFA FF01531B
	v_mul_f32_dpp v112, v27, v112 row_newbcast:4 row_mask:0xf bank_mask:0xf// 00000000503C: 0AE0E0FA FF01541B
	v_mul_f32_dpp v113, v27, v113 row_newbcast:5 row_mask:0xf bank_mask:0xf// 000000005044: 0AE2E2FA FF01551B
	v_mul_f32_dpp v114, v27, v114 row_newbcast:6 row_mask:0xf bank_mask:0xf// 00000000504C: 0AE4E4FA FF01561B
	v_mul_f32_dpp v115, v27, v115 row_newbcast:7 row_mask:0xf bank_mask:0xf// 000000005054: 0AE6E6FA FF01571B
	v_mul_f32_dpp v116, v27, v116 row_newbcast:4 row_mask:0xf bank_mask:0xf// 00000000505C: 0AE8E8FA FF01541B
	v_mul_f32_dpp v117, v27, v117 row_newbcast:5 row_mask:0xf bank_mask:0xf// 000000005064: 0AEAEAFA FF01551B
	v_mul_f32_dpp v118, v27, v118 row_newbcast:6 row_mask:0xf bank_mask:0xf// 00000000506C: 0AECECFA FF01561B
	v_mul_f32_dpp v119, v27, v119 row_newbcast:7 row_mask:0xf bank_mask:0xf// 000000005074: 0AEEEEFA FF01571B
	v_mul_f32_dpp v120, v27, v120 row_newbcast:4 row_mask:0xf bank_mask:0xf// 00000000507C: 0AF0F0FA FF01541B
	v_mul_f32_dpp v121, v27, v121 row_newbcast:5 row_mask:0xf bank_mask:0xf// 000000005084: 0AF2F2FA FF01551B
	v_mul_f32_dpp v122, v27, v122 row_newbcast:6 row_mask:0xf bank_mask:0xf// 00000000508C: 0AF4F4FA FF01561B
	v_mul_f32_dpp v123, v27, v123 row_newbcast:7 row_mask:0xf bank_mask:0xf// 000000005094: 0AF6F6FA FF01571B
	v_mul_f32_dpp v124, v27, v124 row_newbcast:8 row_mask:0xf bank_mask:0xf// 00000000509C: 0AF8F8FA FF01581B
	v_mul_f32_dpp v125, v27, v125 row_newbcast:9 row_mask:0xf bank_mask:0xf// 0000000050A4: 0AFAFAFA FF01591B
	v_mul_f32_dpp v126, v27, v126 row_newbcast:10 row_mask:0xf bank_mask:0xf// 0000000050AC: 0AFCFCFA FF015A1B
	v_mul_f32_dpp v127, v27, v127 row_newbcast:11 row_mask:0xf bank_mask:0xf// 0000000050B4: 0AFEFEFA FF015B1B
	v_mul_f32_dpp v128, v27, v128 row_newbcast:8 row_mask:0xf bank_mask:0xf// 0000000050BC: 0B0100FA FF01581B
	v_mul_f32_dpp v129, v27, v129 row_newbcast:9 row_mask:0xf bank_mask:0xf// 0000000050C4: 0B0302FA FF01591B
	v_mul_f32_dpp v130, v27, v130 row_newbcast:10 row_mask:0xf bank_mask:0xf// 0000000050CC: 0B0504FA FF015A1B
	v_mul_f32_dpp v131, v27, v131 row_newbcast:11 row_mask:0xf bank_mask:0xf// 0000000050D4: 0B0706FA FF015B1B
	v_mul_f32_dpp v132, v27, v132 row_newbcast:8 row_mask:0xf bank_mask:0xf// 0000000050DC: 0B0908FA FF01581B
	v_mul_f32_dpp v133, v27, v133 row_newbcast:9 row_mask:0xf bank_mask:0xf// 0000000050E4: 0B0B0AFA FF01591B
	v_mul_f32_dpp v134, v27, v134 row_newbcast:10 row_mask:0xf bank_mask:0xf// 0000000050EC: 0B0D0CFA FF015A1B
	v_mul_f32_dpp v135, v27, v135 row_newbcast:11 row_mask:0xf bank_mask:0xf// 0000000050F4: 0B0F0EFA FF015B1B
	v_mul_f32_dpp v136, v27, v136 row_newbcast:12 row_mask:0xf bank_mask:0xf// 0000000050FC: 0B1110FA FF015C1B
	v_mul_f32_dpp v137, v27, v137 row_newbcast:13 row_mask:0xf bank_mask:0xf// 000000005104: 0B1312FA FF015D1B
	v_mul_f32_dpp v138, v27, v138 row_newbcast:14 row_mask:0xf bank_mask:0xf// 00000000510C: 0B1514FA FF015E1B
	v_mul_f32_dpp v139, v27, v139 row_newbcast:15 row_mask:0xf bank_mask:0xf// 000000005114: 0B1716FA FF015F1B
	v_mul_f32_dpp v140, v27, v140 row_newbcast:12 row_mask:0xf bank_mask:0xf// 00000000511C: 0B1918FA FF015C1B
	v_mul_f32_dpp v141, v27, v141 row_newbcast:13 row_mask:0xf bank_mask:0xf// 000000005124: 0B1B1AFA FF015D1B
	v_mul_f32_dpp v142, v27, v142 row_newbcast:14 row_mask:0xf bank_mask:0xf// 00000000512C: 0B1D1CFA FF015E1B
	v_mul_f32_dpp v143, v27, v143 row_newbcast:15 row_mask:0xf bank_mask:0xf// 000000005134: 0B1F1EFA FF015F1B
	v_mul_f32_dpp v144, v27, v144 row_newbcast:12 row_mask:0xf bank_mask:0xf// 00000000513C: 0B2120FA FF015C1B
	v_mul_f32_dpp v145, v27, v145 row_newbcast:13 row_mask:0xf bank_mask:0xf// 000000005144: 0B2322FA FF015D1B
	v_mul_f32_dpp v146, v27, v146 row_newbcast:14 row_mask:0xf bank_mask:0xf// 00000000514C: 0B2524FA FF015E1B
	v_mul_f32_dpp v147, v27, v147 row_newbcast:15 row_mask:0xf bank_mask:0xf// 000000005154: 0B2726FA FF015F1B
	v_mul_f32_e32 v33, v33, v148                               // 00000000515C: 0A432921
	v_mov_b32_e32 v4, v33                                      // 000000005160: 7E080321
	v_mov_b32_e32 v5, v4                                       // 000000005164: 7E0A0304
	v_pk_mul_f32 v[52:53], v[4:5], v[52:53]                    // 000000005168: D3B14034 18026904
	v_pk_mul_f32 v[100:101], v[4:5], v[100:101]                // 000000005170: D3B14064 1802C904
	v_pk_mul_f32 v[54:55], v[4:5], v[54:55]                    // 000000005178: D3B14036 18026D04
	v_pk_mul_f32 v[102:103], v[4:5], v[102:103]                // 000000005180: D3B14066 1802CD04
	v_pk_mul_f32 v[64:65], v[4:5], v[64:65]                    // 000000005188: D3B14040 18028104
	v_pk_mul_f32 v[112:113], v[4:5], v[112:113]                // 000000005190: D3B14070 1802E104
	v_pk_mul_f32 v[66:67], v[4:5], v[66:67]                    // 000000005198: D3B14042 18028504
	v_pk_mul_f32 v[114:115], v[4:5], v[114:115]                // 0000000051A0: D3B14072 1802E504
	v_pk_mul_f32 v[76:77], v[4:5], v[76:77]                    // 0000000051A8: D3B1404C 18029904
	v_pk_mul_f32 v[124:125], v[4:5], v[124:125]                // 0000000051B0: D3B1407C 1802F904
	v_pk_mul_f32 v[78:79], v[4:5], v[78:79]                    // 0000000051B8: D3B1404E 18029D04
	v_pk_mul_f32 v[126:127], v[4:5], v[126:127]                // 0000000051C0: D3B1407E 1802FD04
	v_pk_mul_f32 v[88:89], v[4:5], v[88:89]                    // 0000000051C8: D3B14058 1802B104
	v_pk_mul_f32 v[136:137], v[4:5], v[136:137]                // 0000000051D0: D3B14088 18031104
	v_pk_mul_f32 v[90:91], v[4:5], v[90:91]                    // 0000000051D8: D3B1405A 1802B504
	v_pk_mul_f32 v[138:139], v[4:5], v[138:139]                // 0000000051E0: D3B1408A 18031504
	v_mul_f32_e32 v34, v34, v149                               // 0000000051E8: 0A452B22
	v_mov_b32_e32 v4, v34                                      // 0000000051EC: 7E080322
	v_mov_b32_e32 v5, v4                                       // 0000000051F0: 7E0A0304
	v_pk_mul_f32 v[56:57], v[4:5], v[56:57]                    // 0000000051F4: D3B14038 18027104
	v_pk_mul_f32 v[104:105], v[4:5], v[104:105]                // 0000000051FC: D3B14068 1802D104
	v_pk_mul_f32 v[58:59], v[4:5], v[58:59]                    // 000000005204: D3B1403A 18027504
	v_pk_mul_f32 v[106:107], v[4:5], v[106:107]                // 00000000520C: D3B1406A 1802D504
	v_pk_mul_f32 v[68:69], v[4:5], v[68:69]                    // 000000005214: D3B14044 18028904
	v_pk_mul_f32 v[116:117], v[4:5], v[116:117]                // 00000000521C: D3B14074 1802E904
	v_pk_mul_f32 v[70:71], v[4:5], v[70:71]                    // 000000005224: D3B14046 18028D04
	v_pk_mul_f32 v[118:119], v[4:5], v[118:119]                // 00000000522C: D3B14076 1802ED04
	v_pk_mul_f32 v[80:81], v[4:5], v[80:81]                    // 000000005234: D3B14050 1802A104
	v_pk_mul_f32 v[128:129], v[4:5], v[128:129]                // 00000000523C: D3B14080 18030104
	v_pk_mul_f32 v[82:83], v[4:5], v[82:83]                    // 000000005244: D3B14052 1802A504
	v_pk_mul_f32 v[130:131], v[4:5], v[130:131]                // 00000000524C: D3B14082 18030504
	v_pk_mul_f32 v[92:93], v[4:5], v[92:93]                    // 000000005254: D3B1405C 1802B904
	v_pk_mul_f32 v[140:141], v[4:5], v[140:141]                // 00000000525C: D3B1408C 18031904
	v_pk_mul_f32 v[94:95], v[4:5], v[94:95]                    // 000000005264: D3B1405E 1802BD04
	v_pk_mul_f32 v[142:143], v[4:5], v[142:143]                // 00000000526C: D3B1408E 18031D04
	v_mul_f32_e32 v35, v35, v150                               // 000000005274: 0A472D23
	v_mov_b32_e32 v4, v35                                      // 000000005278: 7E080323
	v_mov_b32_e32 v5, v4                                       // 00000000527C: 7E0A0304
	v_pk_mul_f32 v[60:61], v[4:5], v[60:61]                    // 000000005280: D3B1403C 18027904
	v_pk_mul_f32 v[108:109], v[4:5], v[108:109]                // 000000005288: D3B1406C 1802D904
	v_pk_mul_f32 v[62:63], v[4:5], v[62:63]                    // 000000005290: D3B1403E 18027D04
	v_pk_mul_f32 v[110:111], v[4:5], v[110:111]                // 000000005298: D3B1406E 1802DD04
	v_pk_mul_f32 v[72:73], v[4:5], v[72:73]                    // 0000000052A0: D3B14048 18029104
	v_pk_mul_f32 v[120:121], v[4:5], v[120:121]                // 0000000052A8: D3B14078 1802F104
	v_pk_mul_f32 v[74:75], v[4:5], v[74:75]                    // 0000000052B0: D3B1404A 18029504
	v_pk_mul_f32 v[122:123], v[4:5], v[122:123]                // 0000000052B8: D3B1407A 1802F504
	v_pk_mul_f32 v[84:85], v[4:5], v[84:85]                    // 0000000052C0: D3B14054 1802A904
	v_pk_mul_f32 v[132:133], v[4:5], v[132:133]                // 0000000052C8: D3B14084 18030904
	v_pk_mul_f32 v[86:87], v[4:5], v[86:87]                    // 0000000052D0: D3B14056 1802AD04
	v_pk_mul_f32 v[134:135], v[4:5], v[134:135]                // 0000000052D8: D3B14086 18030D04
	v_pk_mul_f32 v[96:97], v[4:5], v[96:97]                    // 0000000052E0: D3B14060 1802C104
	v_pk_mul_f32 v[144:145], v[4:5], v[144:145]                // 0000000052E8: D3B14090 18032104
	v_pk_mul_f32 v[98:99], v[4:5], v[98:99]                    // 0000000052F0: D3B14062 1802C504
	v_pk_mul_f32 v[146:147], v[4:5], v[146:147]                // 0000000052F8: D3B14092 18032504
	s_cmp_eq_u32 s88, 0                                        // 000000005300: BF068058
	s_cbranch_scc0 label_106F                                  // 000000005304: BF84062D
	s_cmp_eq_u32 s89, 0                                        // 000000005308: BF068059
	s_cbranch_scc1 label_0C29                                  // 00000000530C: BF8501E5
	v_mov_b32_e32 v8, v1                                       // 000000005310: 7E100301
	v_mov_b32_e32 v9, v1                                       // 000000005314: 7E120301
	s_mov_b32 s60, s6                                          // 000000005318: BEBC0006
	s_mov_b32 s61, s6                                          // 00000000531C: BEBD0006
	v_pk_mul_f32 v[4:5], v[52:53], v[52:53]                    // 000000005320: D3B14004 18026934
	v_pk_mul_f32 v[6:7], v[54:55], v[54:55]                    // 000000005328: D3B14006 18026D36
	v_pk_fma_f32 v[4:5], v[4:5], s[78:79], v[8:9]              // 000000005330: D3B04004 1C209D04
	v_pk_fma_f32 v[6:7], v[6:7], s[78:79], v[8:9]              // 000000005338: D3B04006 1C209D06
	v_pk_mul_f32 v[4:5], v[4:5], v[52:53]                      // 000000005340: D3B14004 18026904
	v_pk_mul_f32 v[6:7], v[6:7], v[54:55]                      // 000000005348: D3B14006 18026D06
	v_pk_mul_f32 v[4:5], v[4:5], s[60:61]                      // 000000005350: D3B14004 18007904
	v_pk_mul_f32 v[6:7], v[6:7], s[60:61]                      // 000000005358: D3B14006 18007906
	v_exp_f32_e32 v4, v4                                       // 000000005360: 7E084104
	v_exp_f32_e32 v5, v5                                       // 000000005364: 7E0A4105
	v_exp_f32_e32 v6, v6                                       // 000000005368: 7E0C4106
	v_exp_f32_e32 v7, v7                                       // 00000000536C: 7E0E4107
	v_add_f32_e64 v4, v4, 1.0                                  // 000000005370: D1010004 0001E504
	v_add_f32_e64 v5, v5, 1.0                                  // 000000005378: D1010005 0001E505
	v_add_f32_e64 v6, v6, 1.0                                  // 000000005380: D1010006 0001E506
	v_add_f32_e64 v7, v7, 1.0                                  // 000000005388: D1010007 0001E507
	v_rcp_f32_e32 v4, v4                                       // 000000005390: 7E084504
	v_rcp_f32_e32 v5, v5                                       // 000000005394: 7E0A4505
	v_rcp_f32_e32 v6, v6                                       // 000000005398: 7E0C4506
	v_rcp_f32_e32 v7, v7                                       // 00000000539C: 7E0E4507
	v_mul_f32_e32 v52, v52, v4                                 // 0000000053A0: 0A680934
	v_mul_f32_e32 v53, v53, v5                                 // 0000000053A4: 0A6A0B35
	v_mul_f32_e32 v54, v54, v6                                 // 0000000053A8: 0A6C0D36
	v_mul_f32_e32 v55, v55, v7                                 // 0000000053AC: 0A6E0F37
	v_mul_f32_e32 v52, v52, v100                               // 0000000053B0: 0A68C934
	v_mul_f32_e32 v53, v53, v101                               // 0000000053B4: 0A6ACB35
	v_mul_f32_e32 v54, v54, v102                               // 0000000053B8: 0A6CCD36
	v_mul_f32_e32 v55, v55, v103                               // 0000000053BC: 0A6ECF37
	v_pk_mul_f32 v[4:5], v[56:57], v[56:57]                    // 0000000053C0: D3B14004 18027138
	v_pk_mul_f32 v[6:7], v[58:59], v[58:59]                    // 0000000053C8: D3B14006 1802753A
	v_pk_fma_f32 v[4:5], v[4:5], s[78:79], v[8:9]              // 0000000053D0: D3B04004 1C209D04
	v_pk_fma_f32 v[6:7], v[6:7], s[78:79], v[8:9]              // 0000000053D8: D3B04006 1C209D06
	v_pk_mul_f32 v[4:5], v[4:5], v[56:57]                      // 0000000053E0: D3B14004 18027104
	v_pk_mul_f32 v[6:7], v[6:7], v[58:59]                      // 0000000053E8: D3B14006 18027506
	v_pk_mul_f32 v[4:5], v[4:5], s[60:61]                      // 0000000053F0: D3B14004 18007904
	v_pk_mul_f32 v[6:7], v[6:7], s[60:61]                      // 0000000053F8: D3B14006 18007906
	v_exp_f32_e32 v4, v4                                       // 000000005400: 7E084104
	v_exp_f32_e32 v5, v5                                       // 000000005404: 7E0A4105
	v_exp_f32_e32 v6, v6                                       // 000000005408: 7E0C4106
	v_exp_f32_e32 v7, v7                                       // 00000000540C: 7E0E4107
	v_add_f32_e64 v4, v4, 1.0                                  // 000000005410: D1010004 0001E504
	v_add_f32_e64 v5, v5, 1.0                                  // 000000005418: D1010005 0001E505
	v_add_f32_e64 v6, v6, 1.0                                  // 000000005420: D1010006 0001E506
	v_add_f32_e64 v7, v7, 1.0                                  // 000000005428: D1010007 0001E507
	v_rcp_f32_e32 v4, v4                                       // 000000005430: 7E084504
	v_rcp_f32_e32 v5, v5                                       // 000000005434: 7E0A4505
	v_rcp_f32_e32 v6, v6                                       // 000000005438: 7E0C4506
	v_rcp_f32_e32 v7, v7                                       // 00000000543C: 7E0E4507
	v_mul_f32_e32 v56, v56, v4                                 // 000000005440: 0A700938
	v_mul_f32_e32 v57, v57, v5                                 // 000000005444: 0A720B39
	v_mul_f32_e32 v58, v58, v6                                 // 000000005448: 0A740D3A
	v_mul_f32_e32 v59, v59, v7                                 // 00000000544C: 0A760F3B
	v_mul_f32_e32 v56, v56, v104                               // 000000005450: 0A70D138
	v_mul_f32_e32 v57, v57, v105                               // 000000005454: 0A72D339
	v_mul_f32_e32 v58, v58, v106                               // 000000005458: 0A74D53A
	v_mul_f32_e32 v59, v59, v107                               // 00000000545C: 0A76D73B
	v_pk_mul_f32 v[4:5], v[60:61], v[60:61]                    // 000000005460: D3B14004 1802793C
	v_pk_mul_f32 v[6:7], v[62:63], v[62:63]                    // 000000005468: D3B14006 18027D3E
	v_pk_fma_f32 v[4:5], v[4:5], s[78:79], v[8:9]              // 000000005470: D3B04004 1C209D04
	v_pk_fma_f32 v[6:7], v[6:7], s[78:79], v[8:9]              // 000000005478: D3B04006 1C209D06
	v_pk_mul_f32 v[4:5], v[4:5], v[60:61]                      // 000000005480: D3B14004 18027904
	v_pk_mul_f32 v[6:7], v[6:7], v[62:63]                      // 000000005488: D3B14006 18027D06
	v_pk_mul_f32 v[4:5], v[4:5], s[60:61]                      // 000000005490: D3B14004 18007904
	v_pk_mul_f32 v[6:7], v[6:7], s[60:61]                      // 000000005498: D3B14006 18007906
	v_exp_f32_e32 v4, v4                                       // 0000000054A0: 7E084104
	v_exp_f32_e32 v5, v5                                       // 0000000054A4: 7E0A4105
	v_exp_f32_e32 v6, v6                                       // 0000000054A8: 7E0C4106
	v_exp_f32_e32 v7, v7                                       // 0000000054AC: 7E0E4107
	v_add_f32_e64 v4, v4, 1.0                                  // 0000000054B0: D1010004 0001E504
	v_add_f32_e64 v5, v5, 1.0                                  // 0000000054B8: D1010005 0001E505
	v_add_f32_e64 v6, v6, 1.0                                  // 0000000054C0: D1010006 0001E506
	v_add_f32_e64 v7, v7, 1.0                                  // 0000000054C8: D1010007 0001E507
	v_rcp_f32_e32 v4, v4                                       // 0000000054D0: 7E084504
	v_rcp_f32_e32 v5, v5                                       // 0000000054D4: 7E0A4505
	v_rcp_f32_e32 v6, v6                                       // 0000000054D8: 7E0C4506
	v_rcp_f32_e32 v7, v7                                       // 0000000054DC: 7E0E4507
	v_mul_f32_e32 v60, v60, v4                                 // 0000000054E0: 0A78093C
	v_mul_f32_e32 v61, v61, v5                                 // 0000000054E4: 0A7A0B3D
	v_mul_f32_e32 v62, v62, v6                                 // 0000000054E8: 0A7C0D3E
	v_mul_f32_e32 v63, v63, v7                                 // 0000000054EC: 0A7E0F3F
	v_mul_f32_e32 v60, v60, v108                               // 0000000054F0: 0A78D93C
	v_mul_f32_e32 v61, v61, v109                               // 0000000054F4: 0A7ADB3D
	v_mul_f32_e32 v62, v62, v110                               // 0000000054F8: 0A7CDD3E
	v_mul_f32_e32 v63, v63, v111                               // 0000000054FC: 0A7EDF3F
	v_pk_mul_f32 v[4:5], v[64:65], v[64:65]                    // 000000005500: D3B14004 18028140
	v_pk_mul_f32 v[6:7], v[66:67], v[66:67]                    // 000000005508: D3B14006 18028542
	v_pk_fma_f32 v[4:5], v[4:5], s[78:79], v[8:9]              // 000000005510: D3B04004 1C209D04
	v_pk_fma_f32 v[6:7], v[6:7], s[78:79], v[8:9]              // 000000005518: D3B04006 1C209D06
	v_pk_mul_f32 v[4:5], v[4:5], v[64:65]                      // 000000005520: D3B14004 18028104
	v_pk_mul_f32 v[6:7], v[6:7], v[66:67]                      // 000000005528: D3B14006 18028506
	v_pk_mul_f32 v[4:5], v[4:5], s[60:61]                      // 000000005530: D3B14004 18007904
	v_pk_mul_f32 v[6:7], v[6:7], s[60:61]                      // 000000005538: D3B14006 18007906
	v_exp_f32_e32 v4, v4                                       // 000000005540: 7E084104
	v_exp_f32_e32 v5, v5                                       // 000000005544: 7E0A4105
	v_exp_f32_e32 v6, v6                                       // 000000005548: 7E0C4106
	v_exp_f32_e32 v7, v7                                       // 00000000554C: 7E0E4107
	v_add_f32_e64 v4, v4, 1.0                                  // 000000005550: D1010004 0001E504
	v_add_f32_e64 v5, v5, 1.0                                  // 000000005558: D1010005 0001E505
	v_add_f32_e64 v6, v6, 1.0                                  // 000000005560: D1010006 0001E506
	v_add_f32_e64 v7, v7, 1.0                                  // 000000005568: D1010007 0001E507
	v_rcp_f32_e32 v4, v4                                       // 000000005570: 7E084504
	v_rcp_f32_e32 v5, v5                                       // 000000005574: 7E0A4505
	v_rcp_f32_e32 v6, v6                                       // 000000005578: 7E0C4506
	v_rcp_f32_e32 v7, v7                                       // 00000000557C: 7E0E4507
	v_mul_f32_e32 v64, v64, v4                                 // 000000005580: 0A800940
	v_mul_f32_e32 v65, v65, v5                                 // 000000005584: 0A820B41
	v_mul_f32_e32 v66, v66, v6                                 // 000000005588: 0A840D42
	v_mul_f32_e32 v67, v67, v7                                 // 00000000558C: 0A860F43
	v_mul_f32_e32 v64, v64, v112                               // 000000005590: 0A80E140
	v_mul_f32_e32 v65, v65, v113                               // 000000005594: 0A82E341
	v_mul_f32_e32 v66, v66, v114                               // 000000005598: 0A84E542
	v_mul_f32_e32 v67, v67, v115                               // 00000000559C: 0A86E743
	v_pk_mul_f32 v[4:5], v[68:69], v[68:69]                    // 0000000055A0: D3B14004 18028944
	v_pk_mul_f32 v[6:7], v[70:71], v[70:71]                    // 0000000055A8: D3B14006 18028D46
	v_pk_fma_f32 v[4:5], v[4:5], s[78:79], v[8:9]              // 0000000055B0: D3B04004 1C209D04
	v_pk_fma_f32 v[6:7], v[6:7], s[78:79], v[8:9]              // 0000000055B8: D3B04006 1C209D06
	v_pk_mul_f32 v[4:5], v[4:5], v[68:69]                      // 0000000055C0: D3B14004 18028904
	v_pk_mul_f32 v[6:7], v[6:7], v[70:71]                      // 0000000055C8: D3B14006 18028D06
	v_pk_mul_f32 v[4:5], v[4:5], s[60:61]                      // 0000000055D0: D3B14004 18007904
	v_pk_mul_f32 v[6:7], v[6:7], s[60:61]                      // 0000000055D8: D3B14006 18007906
	v_exp_f32_e32 v4, v4                                       // 0000000055E0: 7E084104
	v_exp_f32_e32 v5, v5                                       // 0000000055E4: 7E0A4105
	v_exp_f32_e32 v6, v6                                       // 0000000055E8: 7E0C4106
	v_exp_f32_e32 v7, v7                                       // 0000000055EC: 7E0E4107
	v_add_f32_e64 v4, v4, 1.0                                  // 0000000055F0: D1010004 0001E504
	v_add_f32_e64 v5, v5, 1.0                                  // 0000000055F8: D1010005 0001E505
	v_add_f32_e64 v6, v6, 1.0                                  // 000000005600: D1010006 0001E506
	v_add_f32_e64 v7, v7, 1.0                                  // 000000005608: D1010007 0001E507
	v_rcp_f32_e32 v4, v4                                       // 000000005610: 7E084504
	v_rcp_f32_e32 v5, v5                                       // 000000005614: 7E0A4505
	v_rcp_f32_e32 v6, v6                                       // 000000005618: 7E0C4506
	v_rcp_f32_e32 v7, v7                                       // 00000000561C: 7E0E4507
	v_mul_f32_e32 v68, v68, v4                                 // 000000005620: 0A880944
	v_mul_f32_e32 v69, v69, v5                                 // 000000005624: 0A8A0B45
	v_mul_f32_e32 v70, v70, v6                                 // 000000005628: 0A8C0D46
	v_mul_f32_e32 v71, v71, v7                                 // 00000000562C: 0A8E0F47
	v_mul_f32_e32 v68, v68, v116                               // 000000005630: 0A88E944
	v_mul_f32_e32 v69, v69, v117                               // 000000005634: 0A8AEB45
	v_mul_f32_e32 v70, v70, v118                               // 000000005638: 0A8CED46
	v_mul_f32_e32 v71, v71, v119                               // 00000000563C: 0A8EEF47
	v_pk_mul_f32 v[4:5], v[72:73], v[72:73]                    // 000000005640: D3B14004 18029148
	v_pk_mul_f32 v[6:7], v[74:75], v[74:75]                    // 000000005648: D3B14006 1802954A
	v_pk_fma_f32 v[4:5], v[4:5], s[78:79], v[8:9]              // 000000005650: D3B04004 1C209D04
	v_pk_fma_f32 v[6:7], v[6:7], s[78:79], v[8:9]              // 000000005658: D3B04006 1C209D06
	v_pk_mul_f32 v[4:5], v[4:5], v[72:73]                      // 000000005660: D3B14004 18029104
	v_pk_mul_f32 v[6:7], v[6:7], v[74:75]                      // 000000005668: D3B14006 18029506
	v_pk_mul_f32 v[4:5], v[4:5], s[60:61]                      // 000000005670: D3B14004 18007904
	v_pk_mul_f32 v[6:7], v[6:7], s[60:61]                      // 000000005678: D3B14006 18007906
	v_exp_f32_e32 v4, v4                                       // 000000005680: 7E084104
	v_exp_f32_e32 v5, v5                                       // 000000005684: 7E0A4105
	v_exp_f32_e32 v6, v6                                       // 000000005688: 7E0C4106
	v_exp_f32_e32 v7, v7                                       // 00000000568C: 7E0E4107
	v_add_f32_e64 v4, v4, 1.0                                  // 000000005690: D1010004 0001E504
	v_add_f32_e64 v5, v5, 1.0                                  // 000000005698: D1010005 0001E505
	v_add_f32_e64 v6, v6, 1.0                                  // 0000000056A0: D1010006 0001E506
	v_add_f32_e64 v7, v7, 1.0                                  // 0000000056A8: D1010007 0001E507
	v_rcp_f32_e32 v4, v4                                       // 0000000056B0: 7E084504
	v_rcp_f32_e32 v5, v5                                       // 0000000056B4: 7E0A4505
	v_rcp_f32_e32 v6, v6                                       // 0000000056B8: 7E0C4506
	v_rcp_f32_e32 v7, v7                                       // 0000000056BC: 7E0E4507
	v_mul_f32_e32 v72, v72, v4                                 // 0000000056C0: 0A900948
	v_mul_f32_e32 v73, v73, v5                                 // 0000000056C4: 0A920B49
	v_mul_f32_e32 v74, v74, v6                                 // 0000000056C8: 0A940D4A
	v_mul_f32_e32 v75, v75, v7                                 // 0000000056CC: 0A960F4B
	v_mul_f32_e32 v72, v72, v120                               // 0000000056D0: 0A90F148
	v_mul_f32_e32 v73, v73, v121                               // 0000000056D4: 0A92F349
	v_mul_f32_e32 v74, v74, v122                               // 0000000056D8: 0A94F54A
	v_mul_f32_e32 v75, v75, v123                               // 0000000056DC: 0A96F74B
	v_pk_mul_f32 v[4:5], v[76:77], v[76:77]                    // 0000000056E0: D3B14004 1802994C
	v_pk_mul_f32 v[6:7], v[78:79], v[78:79]                    // 0000000056E8: D3B14006 18029D4E
	v_pk_fma_f32 v[4:5], v[4:5], s[78:79], v[8:9]              // 0000000056F0: D3B04004 1C209D04
	v_pk_fma_f32 v[6:7], v[6:7], s[78:79], v[8:9]              // 0000000056F8: D3B04006 1C209D06
	v_pk_mul_f32 v[4:5], v[4:5], v[76:77]                      // 000000005700: D3B14004 18029904
	v_pk_mul_f32 v[6:7], v[6:7], v[78:79]                      // 000000005708: D3B14006 18029D06
	v_pk_mul_f32 v[4:5], v[4:5], s[60:61]                      // 000000005710: D3B14004 18007904
	v_pk_mul_f32 v[6:7], v[6:7], s[60:61]                      // 000000005718: D3B14006 18007906
	v_exp_f32_e32 v4, v4                                       // 000000005720: 7E084104
	v_exp_f32_e32 v5, v5                                       // 000000005724: 7E0A4105
	v_exp_f32_e32 v6, v6                                       // 000000005728: 7E0C4106
	v_exp_f32_e32 v7, v7                                       // 00000000572C: 7E0E4107
	v_add_f32_e64 v4, v4, 1.0                                  // 000000005730: D1010004 0001E504
	v_add_f32_e64 v5, v5, 1.0                                  // 000000005738: D1010005 0001E505
	v_add_f32_e64 v6, v6, 1.0                                  // 000000005740: D1010006 0001E506
	v_add_f32_e64 v7, v7, 1.0                                  // 000000005748: D1010007 0001E507
	v_rcp_f32_e32 v4, v4                                       // 000000005750: 7E084504
	v_rcp_f32_e32 v5, v5                                       // 000000005754: 7E0A4505
	v_rcp_f32_e32 v6, v6                                       // 000000005758: 7E0C4506
	v_rcp_f32_e32 v7, v7                                       // 00000000575C: 7E0E4507
	v_mul_f32_e32 v76, v76, v4                                 // 000000005760: 0A98094C
	v_mul_f32_e32 v77, v77, v5                                 // 000000005764: 0A9A0B4D
	v_mul_f32_e32 v78, v78, v6                                 // 000000005768: 0A9C0D4E
	v_mul_f32_e32 v79, v79, v7                                 // 00000000576C: 0A9E0F4F
	v_mul_f32_e32 v76, v76, v124                               // 000000005770: 0A98F94C
	v_mul_f32_e32 v77, v77, v125                               // 000000005774: 0A9AFB4D
	v_mul_f32_e32 v78, v78, v126                               // 000000005778: 0A9CFD4E
	v_mul_f32_e32 v79, v79, v127                               // 00000000577C: 0A9EFF4F
	v_pk_mul_f32 v[4:5], v[80:81], v[80:81]                    // 000000005780: D3B14004 1802A150
	v_pk_mul_f32 v[6:7], v[82:83], v[82:83]                    // 000000005788: D3B14006 1802A552
	v_pk_fma_f32 v[4:5], v[4:5], s[78:79], v[8:9]              // 000000005790: D3B04004 1C209D04
	v_pk_fma_f32 v[6:7], v[6:7], s[78:79], v[8:9]              // 000000005798: D3B04006 1C209D06
	v_pk_mul_f32 v[4:5], v[4:5], v[80:81]                      // 0000000057A0: D3B14004 1802A104
	v_pk_mul_f32 v[6:7], v[6:7], v[82:83]                      // 0000000057A8: D3B14006 1802A506
	v_pk_mul_f32 v[4:5], v[4:5], s[60:61]                      // 0000000057B0: D3B14004 18007904
	v_pk_mul_f32 v[6:7], v[6:7], s[60:61]                      // 0000000057B8: D3B14006 18007906
	v_exp_f32_e32 v4, v4                                       // 0000000057C0: 7E084104
	v_exp_f32_e32 v5, v5                                       // 0000000057C4: 7E0A4105
	v_exp_f32_e32 v6, v6                                       // 0000000057C8: 7E0C4106
	v_exp_f32_e32 v7, v7                                       // 0000000057CC: 7E0E4107
	v_add_f32_e64 v4, v4, 1.0                                  // 0000000057D0: D1010004 0001E504
	v_add_f32_e64 v5, v5, 1.0                                  // 0000000057D8: D1010005 0001E505
	v_add_f32_e64 v6, v6, 1.0                                  // 0000000057E0: D1010006 0001E506
	v_add_f32_e64 v7, v7, 1.0                                  // 0000000057E8: D1010007 0001E507
	v_rcp_f32_e32 v4, v4                                       // 0000000057F0: 7E084504
	v_rcp_f32_e32 v5, v5                                       // 0000000057F4: 7E0A4505
	v_rcp_f32_e32 v6, v6                                       // 0000000057F8: 7E0C4506
	v_rcp_f32_e32 v7, v7                                       // 0000000057FC: 7E0E4507
	v_mul_f32_e32 v80, v80, v4                                 // 000000005800: 0AA00950
	v_mul_f32_e32 v81, v81, v5                                 // 000000005804: 0AA20B51
	v_mul_f32_e32 v82, v82, v6                                 // 000000005808: 0AA40D52
	v_mul_f32_e32 v83, v83, v7                                 // 00000000580C: 0AA60F53
	v_mul_f32_e32 v80, v80, v128                               // 000000005810: 0AA10150
	v_mul_f32_e32 v81, v81, v129                               // 000000005814: 0AA30351
	v_mul_f32_e32 v82, v82, v130                               // 000000005818: 0AA50552
	v_mul_f32_e32 v83, v83, v131                               // 00000000581C: 0AA70753
	v_pk_mul_f32 v[4:5], v[84:85], v[84:85]                    // 000000005820: D3B14004 1802A954
	v_pk_mul_f32 v[6:7], v[86:87], v[86:87]                    // 000000005828: D3B14006 1802AD56
	v_pk_fma_f32 v[4:5], v[4:5], s[78:79], v[8:9]              // 000000005830: D3B04004 1C209D04
	v_pk_fma_f32 v[6:7], v[6:7], s[78:79], v[8:9]              // 000000005838: D3B04006 1C209D06
	v_pk_mul_f32 v[4:5], v[4:5], v[84:85]                      // 000000005840: D3B14004 1802A904
	v_pk_mul_f32 v[6:7], v[6:7], v[86:87]                      // 000000005848: D3B14006 1802AD06
	v_pk_mul_f32 v[4:5], v[4:5], s[60:61]                      // 000000005850: D3B14004 18007904
	v_pk_mul_f32 v[6:7], v[6:7], s[60:61]                      // 000000005858: D3B14006 18007906
	v_exp_f32_e32 v4, v4                                       // 000000005860: 7E084104
	v_exp_f32_e32 v5, v5                                       // 000000005864: 7E0A4105
	v_exp_f32_e32 v6, v6                                       // 000000005868: 7E0C4106
	v_exp_f32_e32 v7, v7                                       // 00000000586C: 7E0E4107
	v_add_f32_e64 v4, v4, 1.0                                  // 000000005870: D1010004 0001E504
	v_add_f32_e64 v5, v5, 1.0                                  // 000000005878: D1010005 0001E505
	v_add_f32_e64 v6, v6, 1.0                                  // 000000005880: D1010006 0001E506
	v_add_f32_e64 v7, v7, 1.0                                  // 000000005888: D1010007 0001E507
	v_rcp_f32_e32 v4, v4                                       // 000000005890: 7E084504
	v_rcp_f32_e32 v5, v5                                       // 000000005894: 7E0A4505
	v_rcp_f32_e32 v6, v6                                       // 000000005898: 7E0C4506
	v_rcp_f32_e32 v7, v7                                       // 00000000589C: 7E0E4507
	v_mul_f32_e32 v84, v84, v4                                 // 0000000058A0: 0AA80954
	v_mul_f32_e32 v85, v85, v5                                 // 0000000058A4: 0AAA0B55
	v_mul_f32_e32 v86, v86, v6                                 // 0000000058A8: 0AAC0D56
	v_mul_f32_e32 v87, v87, v7                                 // 0000000058AC: 0AAE0F57
	v_mul_f32_e32 v84, v84, v132                               // 0000000058B0: 0AA90954
	v_mul_f32_e32 v85, v85, v133                               // 0000000058B4: 0AAB0B55
	v_mul_f32_e32 v86, v86, v134                               // 0000000058B8: 0AAD0D56
	v_mul_f32_e32 v87, v87, v135                               // 0000000058BC: 0AAF0F57
	v_pk_mul_f32 v[4:5], v[88:89], v[88:89]                    // 0000000058C0: D3B14004 1802B158
	v_pk_mul_f32 v[6:7], v[90:91], v[90:91]                    // 0000000058C8: D3B14006 1802B55A
	v_pk_fma_f32 v[4:5], v[4:5], s[78:79], v[8:9]              // 0000000058D0: D3B04004 1C209D04
	v_pk_fma_f32 v[6:7], v[6:7], s[78:79], v[8:9]              // 0000000058D8: D3B04006 1C209D06
	v_pk_mul_f32 v[4:5], v[4:5], v[88:89]                      // 0000000058E0: D3B14004 1802B104
	v_pk_mul_f32 v[6:7], v[6:7], v[90:91]                      // 0000000058E8: D3B14006 1802B506
	v_pk_mul_f32 v[4:5], v[4:5], s[60:61]                      // 0000000058F0: D3B14004 18007904
	v_pk_mul_f32 v[6:7], v[6:7], s[60:61]                      // 0000000058F8: D3B14006 18007906
	v_exp_f32_e32 v4, v4                                       // 000000005900: 7E084104
	v_exp_f32_e32 v5, v5                                       // 000000005904: 7E0A4105
	v_exp_f32_e32 v6, v6                                       // 000000005908: 7E0C4106
	v_exp_f32_e32 v7, v7                                       // 00000000590C: 7E0E4107
	v_add_f32_e64 v4, v4, 1.0                                  // 000000005910: D1010004 0001E504
	v_add_f32_e64 v5, v5, 1.0                                  // 000000005918: D1010005 0001E505
	v_add_f32_e64 v6, v6, 1.0                                  // 000000005920: D1010006 0001E506
	v_add_f32_e64 v7, v7, 1.0                                  // 000000005928: D1010007 0001E507
	v_rcp_f32_e32 v4, v4                                       // 000000005930: 7E084504
	v_rcp_f32_e32 v5, v5                                       // 000000005934: 7E0A4505
	v_rcp_f32_e32 v6, v6                                       // 000000005938: 7E0C4506
	v_rcp_f32_e32 v7, v7                                       // 00000000593C: 7E0E4507
	v_mul_f32_e32 v88, v88, v4                                 // 000000005940: 0AB00958
	v_mul_f32_e32 v89, v89, v5                                 // 000000005944: 0AB20B59
	v_mul_f32_e32 v90, v90, v6                                 // 000000005948: 0AB40D5A
	v_mul_f32_e32 v91, v91, v7                                 // 00000000594C: 0AB60F5B
	v_mul_f32_e32 v88, v88, v136                               // 000000005950: 0AB11158
	v_mul_f32_e32 v89, v89, v137                               // 000000005954: 0AB31359
	v_mul_f32_e32 v90, v90, v138                               // 000000005958: 0AB5155A
	v_mul_f32_e32 v91, v91, v139                               // 00000000595C: 0AB7175B
	v_pk_mul_f32 v[4:5], v[92:93], v[92:93]                    // 000000005960: D3B14004 1802B95C
	v_pk_mul_f32 v[6:7], v[94:95], v[94:95]                    // 000000005968: D3B14006 1802BD5E
	v_pk_fma_f32 v[4:5], v[4:5], s[78:79], v[8:9]              // 000000005970: D3B04004 1C209D04
	v_pk_fma_f32 v[6:7], v[6:7], s[78:79], v[8:9]              // 000000005978: D3B04006 1C209D06
	v_pk_mul_f32 v[4:5], v[4:5], v[92:93]                      // 000000005980: D3B14004 1802B904
	v_pk_mul_f32 v[6:7], v[6:7], v[94:95]                      // 000000005988: D3B14006 1802BD06
	v_pk_mul_f32 v[4:5], v[4:5], s[60:61]                      // 000000005990: D3B14004 18007904
	v_pk_mul_f32 v[6:7], v[6:7], s[60:61]                      // 000000005998: D3B14006 18007906
	v_exp_f32_e32 v4, v4                                       // 0000000059A0: 7E084104
	v_exp_f32_e32 v5, v5                                       // 0000000059A4: 7E0A4105
	v_exp_f32_e32 v6, v6                                       // 0000000059A8: 7E0C4106
	v_exp_f32_e32 v7, v7                                       // 0000000059AC: 7E0E4107
	v_add_f32_e64 v4, v4, 1.0                                  // 0000000059B0: D1010004 0001E504
	v_add_f32_e64 v5, v5, 1.0                                  // 0000000059B8: D1010005 0001E505
	v_add_f32_e64 v6, v6, 1.0                                  // 0000000059C0: D1010006 0001E506
	v_add_f32_e64 v7, v7, 1.0                                  // 0000000059C8: D1010007 0001E507
	v_rcp_f32_e32 v4, v4                                       // 0000000059D0: 7E084504
	v_rcp_f32_e32 v5, v5                                       // 0000000059D4: 7E0A4505
	v_rcp_f32_e32 v6, v6                                       // 0000000059D8: 7E0C4506
	v_rcp_f32_e32 v7, v7                                       // 0000000059DC: 7E0E4507
	v_mul_f32_e32 v92, v92, v4                                 // 0000000059E0: 0AB8095C
	v_mul_f32_e32 v93, v93, v5                                 // 0000000059E4: 0ABA0B5D
	v_mul_f32_e32 v94, v94, v6                                 // 0000000059E8: 0ABC0D5E
	v_mul_f32_e32 v95, v95, v7                                 // 0000000059EC: 0ABE0F5F
	v_mul_f32_e32 v92, v92, v140                               // 0000000059F0: 0AB9195C
	v_mul_f32_e32 v93, v93, v141                               // 0000000059F4: 0ABB1B5D
	v_mul_f32_e32 v94, v94, v142                               // 0000000059F8: 0ABD1D5E
	v_mul_f32_e32 v95, v95, v143                               // 0000000059FC: 0ABF1F5F
	v_pk_mul_f32 v[4:5], v[96:97], v[96:97]                    // 000000005A00: D3B14004 1802C160
	v_pk_mul_f32 v[6:7], v[98:99], v[98:99]                    // 000000005A08: D3B14006 1802C562
	v_pk_fma_f32 v[4:5], v[4:5], s[78:79], v[8:9]              // 000000005A10: D3B04004 1C209D04
	v_pk_fma_f32 v[6:7], v[6:7], s[78:79], v[8:9]              // 000000005A18: D3B04006 1C209D06
	v_pk_mul_f32 v[4:5], v[4:5], v[96:97]                      // 000000005A20: D3B14004 1802C104
	v_pk_mul_f32 v[6:7], v[6:7], v[98:99]                      // 000000005A28: D3B14006 1802C506
	v_pk_mul_f32 v[4:5], v[4:5], s[60:61]                      // 000000005A30: D3B14004 18007904
	v_pk_mul_f32 v[6:7], v[6:7], s[60:61]                      // 000000005A38: D3B14006 18007906
	v_exp_f32_e32 v4, v4                                       // 000000005A40: 7E084104
	v_exp_f32_e32 v5, v5                                       // 000000005A44: 7E0A4105
	v_exp_f32_e32 v6, v6                                       // 000000005A48: 7E0C4106
	v_exp_f32_e32 v7, v7                                       // 000000005A4C: 7E0E4107
	v_add_f32_e64 v4, v4, 1.0                                  // 000000005A50: D1010004 0001E504
	v_add_f32_e64 v5, v5, 1.0                                  // 000000005A58: D1010005 0001E505
	v_add_f32_e64 v6, v6, 1.0                                  // 000000005A60: D1010006 0001E506
	v_add_f32_e64 v7, v7, 1.0                                  // 000000005A68: D1010007 0001E507
	v_rcp_f32_e32 v4, v4                                       // 000000005A70: 7E084504
	v_rcp_f32_e32 v5, v5                                       // 000000005A74: 7E0A4505
	v_rcp_f32_e32 v6, v6                                       // 000000005A78: 7E0C4506
	v_rcp_f32_e32 v7, v7                                       // 000000005A7C: 7E0E4507
	v_mul_f32_e32 v96, v96, v4                                 // 000000005A80: 0AC00960
	v_mul_f32_e32 v97, v97, v5                                 // 000000005A84: 0AC20B61
	v_mul_f32_e32 v98, v98, v6                                 // 000000005A88: 0AC40D62
	v_mul_f32_e32 v99, v99, v7                                 // 000000005A8C: 0AC60F63
	v_mul_f32_e32 v96, v96, v144                               // 000000005A90: 0AC12160
	v_mul_f32_e32 v97, v97, v145                               // 000000005A94: 0AC32361
	v_mul_f32_e32 v98, v98, v146                               // 000000005A98: 0AC52562
	v_mul_f32_e32 v99, v99, v147                               // 000000005A9C: 0AC72763
	s_branch label_0DA9                                        // 000000005AA0: BF820180

0000000000005aa4 <label_0C29>:
	v_mul_f32_e64 v4, -v52, s6                                 // 000000005AA4: D1050004 20000D34
	v_mul_f32_e64 v5, -v53, s6                                 // 000000005AAC: D1050005 20000D35
	v_mul_f32_e64 v6, -v54, s6                                 // 000000005AB4: D1050006 20000D36
	v_mul_f32_e64 v7, -v55, s6                                 // 000000005ABC: D1050007 20000D37
	v_exp_f32_e32 v4, v4                                       // 000000005AC4: 7E084104
	v_exp_f32_e32 v5, v5                                       // 000000005AC8: 7E0A4105
	v_exp_f32_e32 v6, v6                                       // 000000005ACC: 7E0C4106
	v_exp_f32_e32 v7, v7                                       // 000000005AD0: 7E0E4107
	v_add_f32_e64 v4, v4, 1.0                                  // 000000005AD4: D1010004 0001E504
	v_add_f32_e64 v5, v5, 1.0                                  // 000000005ADC: D1010005 0001E505
	v_add_f32_e64 v6, v6, 1.0                                  // 000000005AE4: D1010006 0001E506
	v_add_f32_e64 v7, v7, 1.0                                  // 000000005AEC: D1010007 0001E507
	v_rcp_f32_e32 v4, v4                                       // 000000005AF4: 7E084504
	v_rcp_f32_e32 v5, v5                                       // 000000005AF8: 7E0A4505
	v_rcp_f32_e32 v6, v6                                       // 000000005AFC: 7E0C4506
	v_rcp_f32_e32 v7, v7                                       // 000000005B00: 7E0E4507
	v_mul_f32_e32 v52, v52, v4                                 // 000000005B04: 0A680934
	v_mul_f32_e32 v53, v53, v5                                 // 000000005B08: 0A6A0B35
	v_mul_f32_e32 v54, v54, v6                                 // 000000005B0C: 0A6C0D36
	v_mul_f32_e32 v55, v55, v7                                 // 000000005B10: 0A6E0F37
	v_mul_f32_e32 v52, v52, v100                               // 000000005B14: 0A68C934
	v_mul_f32_e32 v53, v53, v101                               // 000000005B18: 0A6ACB35
	v_mul_f32_e32 v54, v54, v102                               // 000000005B1C: 0A6CCD36
	v_mul_f32_e32 v55, v55, v103                               // 000000005B20: 0A6ECF37
	v_mul_f32_e64 v4, -v56, s6                                 // 000000005B24: D1050004 20000D38
	v_mul_f32_e64 v5, -v57, s6                                 // 000000005B2C: D1050005 20000D39
	v_mul_f32_e64 v6, -v58, s6                                 // 000000005B34: D1050006 20000D3A
	v_mul_f32_e64 v7, -v59, s6                                 // 000000005B3C: D1050007 20000D3B
	v_exp_f32_e32 v4, v4                                       // 000000005B44: 7E084104
	v_exp_f32_e32 v5, v5                                       // 000000005B48: 7E0A4105
	v_exp_f32_e32 v6, v6                                       // 000000005B4C: 7E0C4106
	v_exp_f32_e32 v7, v7                                       // 000000005B50: 7E0E4107
	v_add_f32_e64 v4, v4, 1.0                                  // 000000005B54: D1010004 0001E504
	v_add_f32_e64 v5, v5, 1.0                                  // 000000005B5C: D1010005 0001E505
	v_add_f32_e64 v6, v6, 1.0                                  // 000000005B64: D1010006 0001E506
	v_add_f32_e64 v7, v7, 1.0                                  // 000000005B6C: D1010007 0001E507
	v_rcp_f32_e32 v4, v4                                       // 000000005B74: 7E084504
	v_rcp_f32_e32 v5, v5                                       // 000000005B78: 7E0A4505
	v_rcp_f32_e32 v6, v6                                       // 000000005B7C: 7E0C4506
	v_rcp_f32_e32 v7, v7                                       // 000000005B80: 7E0E4507
	v_mul_f32_e32 v56, v56, v4                                 // 000000005B84: 0A700938
	v_mul_f32_e32 v57, v57, v5                                 // 000000005B88: 0A720B39
	v_mul_f32_e32 v58, v58, v6                                 // 000000005B8C: 0A740D3A
	v_mul_f32_e32 v59, v59, v7                                 // 000000005B90: 0A760F3B
	v_mul_f32_e32 v56, v56, v104                               // 000000005B94: 0A70D138
	v_mul_f32_e32 v57, v57, v105                               // 000000005B98: 0A72D339
	v_mul_f32_e32 v58, v58, v106                               // 000000005B9C: 0A74D53A
	v_mul_f32_e32 v59, v59, v107                               // 000000005BA0: 0A76D73B
	v_mul_f32_e64 v4, -v60, s6                                 // 000000005BA4: D1050004 20000D3C
	v_mul_f32_e64 v5, -v61, s6                                 // 000000005BAC: D1050005 20000D3D
	v_mul_f32_e64 v6, -v62, s6                                 // 000000005BB4: D1050006 20000D3E
	v_mul_f32_e64 v7, -v63, s6                                 // 000000005BBC: D1050007 20000D3F
	v_exp_f32_e32 v4, v4                                       // 000000005BC4: 7E084104
	v_exp_f32_e32 v5, v5                                       // 000000005BC8: 7E0A4105
	v_exp_f32_e32 v6, v6                                       // 000000005BCC: 7E0C4106
	v_exp_f32_e32 v7, v7                                       // 000000005BD0: 7E0E4107
	v_add_f32_e64 v4, v4, 1.0                                  // 000000005BD4: D1010004 0001E504
	v_add_f32_e64 v5, v5, 1.0                                  // 000000005BDC: D1010005 0001E505
	v_add_f32_e64 v6, v6, 1.0                                  // 000000005BE4: D1010006 0001E506
	v_add_f32_e64 v7, v7, 1.0                                  // 000000005BEC: D1010007 0001E507
	v_rcp_f32_e32 v4, v4                                       // 000000005BF4: 7E084504
	v_rcp_f32_e32 v5, v5                                       // 000000005BF8: 7E0A4505
	v_rcp_f32_e32 v6, v6                                       // 000000005BFC: 7E0C4506
	v_rcp_f32_e32 v7, v7                                       // 000000005C00: 7E0E4507
	v_mul_f32_e32 v60, v60, v4                                 // 000000005C04: 0A78093C
	v_mul_f32_e32 v61, v61, v5                                 // 000000005C08: 0A7A0B3D
	v_mul_f32_e32 v62, v62, v6                                 // 000000005C0C: 0A7C0D3E
	v_mul_f32_e32 v63, v63, v7                                 // 000000005C10: 0A7E0F3F
	v_mul_f32_e32 v60, v60, v108                               // 000000005C14: 0A78D93C
	v_mul_f32_e32 v61, v61, v109                               // 000000005C18: 0A7ADB3D
	v_mul_f32_e32 v62, v62, v110                               // 000000005C1C: 0A7CDD3E
	v_mul_f32_e32 v63, v63, v111                               // 000000005C20: 0A7EDF3F
	v_mul_f32_e64 v4, -v64, s6                                 // 000000005C24: D1050004 20000D40
	v_mul_f32_e64 v5, -v65, s6                                 // 000000005C2C: D1050005 20000D41
	v_mul_f32_e64 v6, -v66, s6                                 // 000000005C34: D1050006 20000D42
	v_mul_f32_e64 v7, -v67, s6                                 // 000000005C3C: D1050007 20000D43
	v_exp_f32_e32 v4, v4                                       // 000000005C44: 7E084104
	v_exp_f32_e32 v5, v5                                       // 000000005C48: 7E0A4105
	v_exp_f32_e32 v6, v6                                       // 000000005C4C: 7E0C4106
	v_exp_f32_e32 v7, v7                                       // 000000005C50: 7E0E4107
	v_add_f32_e64 v4, v4, 1.0                                  // 000000005C54: D1010004 0001E504
	v_add_f32_e64 v5, v5, 1.0                                  // 000000005C5C: D1010005 0001E505
	v_add_f32_e64 v6, v6, 1.0                                  // 000000005C64: D1010006 0001E506
	v_add_f32_e64 v7, v7, 1.0                                  // 000000005C6C: D1010007 0001E507
	v_rcp_f32_e32 v4, v4                                       // 000000005C74: 7E084504
	v_rcp_f32_e32 v5, v5                                       // 000000005C78: 7E0A4505
	v_rcp_f32_e32 v6, v6                                       // 000000005C7C: 7E0C4506
	v_rcp_f32_e32 v7, v7                                       // 000000005C80: 7E0E4507
	v_mul_f32_e32 v64, v64, v4                                 // 000000005C84: 0A800940
	v_mul_f32_e32 v65, v65, v5                                 // 000000005C88: 0A820B41
	v_mul_f32_e32 v66, v66, v6                                 // 000000005C8C: 0A840D42
	v_mul_f32_e32 v67, v67, v7                                 // 000000005C90: 0A860F43
	v_mul_f32_e32 v64, v64, v112                               // 000000005C94: 0A80E140
	v_mul_f32_e32 v65, v65, v113                               // 000000005C98: 0A82E341
	v_mul_f32_e32 v66, v66, v114                               // 000000005C9C: 0A84E542
	v_mul_f32_e32 v67, v67, v115                               // 000000005CA0: 0A86E743
	v_mul_f32_e64 v4, -v68, s6                                 // 000000005CA4: D1050004 20000D44
	v_mul_f32_e64 v5, -v69, s6                                 // 000000005CAC: D1050005 20000D45
	v_mul_f32_e64 v6, -v70, s6                                 // 000000005CB4: D1050006 20000D46
	v_mul_f32_e64 v7, -v71, s6                                 // 000000005CBC: D1050007 20000D47
	v_exp_f32_e32 v4, v4                                       // 000000005CC4: 7E084104
	v_exp_f32_e32 v5, v5                                       // 000000005CC8: 7E0A4105
	v_exp_f32_e32 v6, v6                                       // 000000005CCC: 7E0C4106
	v_exp_f32_e32 v7, v7                                       // 000000005CD0: 7E0E4107
	v_add_f32_e64 v4, v4, 1.0                                  // 000000005CD4: D1010004 0001E504
	v_add_f32_e64 v5, v5, 1.0                                  // 000000005CDC: D1010005 0001E505
	v_add_f32_e64 v6, v6, 1.0                                  // 000000005CE4: D1010006 0001E506
	v_add_f32_e64 v7, v7, 1.0                                  // 000000005CEC: D1010007 0001E507
	v_rcp_f32_e32 v4, v4                                       // 000000005CF4: 7E084504
	v_rcp_f32_e32 v5, v5                                       // 000000005CF8: 7E0A4505
	v_rcp_f32_e32 v6, v6                                       // 000000005CFC: 7E0C4506
	v_rcp_f32_e32 v7, v7                                       // 000000005D00: 7E0E4507
	v_mul_f32_e32 v68, v68, v4                                 // 000000005D04: 0A880944
	v_mul_f32_e32 v69, v69, v5                                 // 000000005D08: 0A8A0B45
	v_mul_f32_e32 v70, v70, v6                                 // 000000005D0C: 0A8C0D46
	v_mul_f32_e32 v71, v71, v7                                 // 000000005D10: 0A8E0F47
	v_mul_f32_e32 v68, v68, v116                               // 000000005D14: 0A88E944
	v_mul_f32_e32 v69, v69, v117                               // 000000005D18: 0A8AEB45
	v_mul_f32_e32 v70, v70, v118                               // 000000005D1C: 0A8CED46
	v_mul_f32_e32 v71, v71, v119                               // 000000005D20: 0A8EEF47
	v_mul_f32_e64 v4, -v72, s6                                 // 000000005D24: D1050004 20000D48
	v_mul_f32_e64 v5, -v73, s6                                 // 000000005D2C: D1050005 20000D49
	v_mul_f32_e64 v6, -v74, s6                                 // 000000005D34: D1050006 20000D4A
	v_mul_f32_e64 v7, -v75, s6                                 // 000000005D3C: D1050007 20000D4B
	v_exp_f32_e32 v4, v4                                       // 000000005D44: 7E084104
	v_exp_f32_e32 v5, v5                                       // 000000005D48: 7E0A4105
	v_exp_f32_e32 v6, v6                                       // 000000005D4C: 7E0C4106
	v_exp_f32_e32 v7, v7                                       // 000000005D50: 7E0E4107
	v_add_f32_e64 v4, v4, 1.0                                  // 000000005D54: D1010004 0001E504
	v_add_f32_e64 v5, v5, 1.0                                  // 000000005D5C: D1010005 0001E505
	v_add_f32_e64 v6, v6, 1.0                                  // 000000005D64: D1010006 0001E506
	v_add_f32_e64 v7, v7, 1.0                                  // 000000005D6C: D1010007 0001E507
	v_rcp_f32_e32 v4, v4                                       // 000000005D74: 7E084504
	v_rcp_f32_e32 v5, v5                                       // 000000005D78: 7E0A4505
	v_rcp_f32_e32 v6, v6                                       // 000000005D7C: 7E0C4506
	v_rcp_f32_e32 v7, v7                                       // 000000005D80: 7E0E4507
	v_mul_f32_e32 v72, v72, v4                                 // 000000005D84: 0A900948
	v_mul_f32_e32 v73, v73, v5                                 // 000000005D88: 0A920B49
	v_mul_f32_e32 v74, v74, v6                                 // 000000005D8C: 0A940D4A
	v_mul_f32_e32 v75, v75, v7                                 // 000000005D90: 0A960F4B
	v_mul_f32_e32 v72, v72, v120                               // 000000005D94: 0A90F148
	v_mul_f32_e32 v73, v73, v121                               // 000000005D98: 0A92F349
	v_mul_f32_e32 v74, v74, v122                               // 000000005D9C: 0A94F54A
	v_mul_f32_e32 v75, v75, v123                               // 000000005DA0: 0A96F74B
	v_mul_f32_e64 v4, -v76, s6                                 // 000000005DA4: D1050004 20000D4C
	v_mul_f32_e64 v5, -v77, s6                                 // 000000005DAC: D1050005 20000D4D
	v_mul_f32_e64 v6, -v78, s6                                 // 000000005DB4: D1050006 20000D4E
	v_mul_f32_e64 v7, -v79, s6                                 // 000000005DBC: D1050007 20000D4F
	v_exp_f32_e32 v4, v4                                       // 000000005DC4: 7E084104
	v_exp_f32_e32 v5, v5                                       // 000000005DC8: 7E0A4105
	v_exp_f32_e32 v6, v6                                       // 000000005DCC: 7E0C4106
	v_exp_f32_e32 v7, v7                                       // 000000005DD0: 7E0E4107
	v_add_f32_e64 v4, v4, 1.0                                  // 000000005DD4: D1010004 0001E504
	v_add_f32_e64 v5, v5, 1.0                                  // 000000005DDC: D1010005 0001E505
	v_add_f32_e64 v6, v6, 1.0                                  // 000000005DE4: D1010006 0001E506
	v_add_f32_e64 v7, v7, 1.0                                  // 000000005DEC: D1010007 0001E507
	v_rcp_f32_e32 v4, v4                                       // 000000005DF4: 7E084504
	v_rcp_f32_e32 v5, v5                                       // 000000005DF8: 7E0A4505
	v_rcp_f32_e32 v6, v6                                       // 000000005DFC: 7E0C4506
	v_rcp_f32_e32 v7, v7                                       // 000000005E00: 7E0E4507
	v_mul_f32_e32 v76, v76, v4                                 // 000000005E04: 0A98094C
	v_mul_f32_e32 v77, v77, v5                                 // 000000005E08: 0A9A0B4D
	v_mul_f32_e32 v78, v78, v6                                 // 000000005E0C: 0A9C0D4E
	v_mul_f32_e32 v79, v79, v7                                 // 000000005E10: 0A9E0F4F
	v_mul_f32_e32 v76, v76, v124                               // 000000005E14: 0A98F94C
	v_mul_f32_e32 v77, v77, v125                               // 000000005E18: 0A9AFB4D
	v_mul_f32_e32 v78, v78, v126                               // 000000005E1C: 0A9CFD4E
	v_mul_f32_e32 v79, v79, v127                               // 000000005E20: 0A9EFF4F
	v_mul_f32_e64 v4, -v80, s6                                 // 000000005E24: D1050004 20000D50
	v_mul_f32_e64 v5, -v81, s6                                 // 000000005E2C: D1050005 20000D51
	v_mul_f32_e64 v6, -v82, s6                                 // 000000005E34: D1050006 20000D52
	v_mul_f32_e64 v7, -v83, s6                                 // 000000005E3C: D1050007 20000D53
	v_exp_f32_e32 v4, v4                                       // 000000005E44: 7E084104
	v_exp_f32_e32 v5, v5                                       // 000000005E48: 7E0A4105
	v_exp_f32_e32 v6, v6                                       // 000000005E4C: 7E0C4106
	v_exp_f32_e32 v7, v7                                       // 000000005E50: 7E0E4107
	v_add_f32_e64 v4, v4, 1.0                                  // 000000005E54: D1010004 0001E504
	v_add_f32_e64 v5, v5, 1.0                                  // 000000005E5C: D1010005 0001E505
	v_add_f32_e64 v6, v6, 1.0                                  // 000000005E64: D1010006 0001E506
	v_add_f32_e64 v7, v7, 1.0                                  // 000000005E6C: D1010007 0001E507
	v_rcp_f32_e32 v4, v4                                       // 000000005E74: 7E084504
	v_rcp_f32_e32 v5, v5                                       // 000000005E78: 7E0A4505
	v_rcp_f32_e32 v6, v6                                       // 000000005E7C: 7E0C4506
	v_rcp_f32_e32 v7, v7                                       // 000000005E80: 7E0E4507
	v_mul_f32_e32 v80, v80, v4                                 // 000000005E84: 0AA00950
	v_mul_f32_e32 v81, v81, v5                                 // 000000005E88: 0AA20B51
	v_mul_f32_e32 v82, v82, v6                                 // 000000005E8C: 0AA40D52
	v_mul_f32_e32 v83, v83, v7                                 // 000000005E90: 0AA60F53
	v_mul_f32_e32 v80, v80, v128                               // 000000005E94: 0AA10150
	v_mul_f32_e32 v81, v81, v129                               // 000000005E98: 0AA30351
	v_mul_f32_e32 v82, v82, v130                               // 000000005E9C: 0AA50552
	v_mul_f32_e32 v83, v83, v131                               // 000000005EA0: 0AA70753
	v_mul_f32_e64 v4, -v84, s6                                 // 000000005EA4: D1050004 20000D54
	v_mul_f32_e64 v5, -v85, s6                                 // 000000005EAC: D1050005 20000D55
	v_mul_f32_e64 v6, -v86, s6                                 // 000000005EB4: D1050006 20000D56
	v_mul_f32_e64 v7, -v87, s6                                 // 000000005EBC: D1050007 20000D57
	v_exp_f32_e32 v4, v4                                       // 000000005EC4: 7E084104
	v_exp_f32_e32 v5, v5                                       // 000000005EC8: 7E0A4105
	v_exp_f32_e32 v6, v6                                       // 000000005ECC: 7E0C4106
	v_exp_f32_e32 v7, v7                                       // 000000005ED0: 7E0E4107
	v_add_f32_e64 v4, v4, 1.0                                  // 000000005ED4: D1010004 0001E504
	v_add_f32_e64 v5, v5, 1.0                                  // 000000005EDC: D1010005 0001E505
	v_add_f32_e64 v6, v6, 1.0                                  // 000000005EE4: D1010006 0001E506
	v_add_f32_e64 v7, v7, 1.0                                  // 000000005EEC: D1010007 0001E507
	v_rcp_f32_e32 v4, v4                                       // 000000005EF4: 7E084504
	v_rcp_f32_e32 v5, v5                                       // 000000005EF8: 7E0A4505
	v_rcp_f32_e32 v6, v6                                       // 000000005EFC: 7E0C4506
	v_rcp_f32_e32 v7, v7                                       // 000000005F00: 7E0E4507
	v_mul_f32_e32 v84, v84, v4                                 // 000000005F04: 0AA80954
	v_mul_f32_e32 v85, v85, v5                                 // 000000005F08: 0AAA0B55
	v_mul_f32_e32 v86, v86, v6                                 // 000000005F0C: 0AAC0D56
	v_mul_f32_e32 v87, v87, v7                                 // 000000005F10: 0AAE0F57
	v_mul_f32_e32 v84, v84, v132                               // 000000005F14: 0AA90954
	v_mul_f32_e32 v85, v85, v133                               // 000000005F18: 0AAB0B55
	v_mul_f32_e32 v86, v86, v134                               // 000000005F1C: 0AAD0D56
	v_mul_f32_e32 v87, v87, v135                               // 000000005F20: 0AAF0F57
	v_mul_f32_e64 v4, -v88, s6                                 // 000000005F24: D1050004 20000D58
	v_mul_f32_e64 v5, -v89, s6                                 // 000000005F2C: D1050005 20000D59
	v_mul_f32_e64 v6, -v90, s6                                 // 000000005F34: D1050006 20000D5A
	v_mul_f32_e64 v7, -v91, s6                                 // 000000005F3C: D1050007 20000D5B
	v_exp_f32_e32 v4, v4                                       // 000000005F44: 7E084104
	v_exp_f32_e32 v5, v5                                       // 000000005F48: 7E0A4105
	v_exp_f32_e32 v6, v6                                       // 000000005F4C: 7E0C4106
	v_exp_f32_e32 v7, v7                                       // 000000005F50: 7E0E4107
	v_add_f32_e64 v4, v4, 1.0                                  // 000000005F54: D1010004 0001E504
	v_add_f32_e64 v5, v5, 1.0                                  // 000000005F5C: D1010005 0001E505
	v_add_f32_e64 v6, v6, 1.0                                  // 000000005F64: D1010006 0001E506
	v_add_f32_e64 v7, v7, 1.0                                  // 000000005F6C: D1010007 0001E507
	v_rcp_f32_e32 v4, v4                                       // 000000005F74: 7E084504
	v_rcp_f32_e32 v5, v5                                       // 000000005F78: 7E0A4505
	v_rcp_f32_e32 v6, v6                                       // 000000005F7C: 7E0C4506
	v_rcp_f32_e32 v7, v7                                       // 000000005F80: 7E0E4507
	v_mul_f32_e32 v88, v88, v4                                 // 000000005F84: 0AB00958
	v_mul_f32_e32 v89, v89, v5                                 // 000000005F88: 0AB20B59
	v_mul_f32_e32 v90, v90, v6                                 // 000000005F8C: 0AB40D5A
	v_mul_f32_e32 v91, v91, v7                                 // 000000005F90: 0AB60F5B
	v_mul_f32_e32 v88, v88, v136                               // 000000005F94: 0AB11158
	v_mul_f32_e32 v89, v89, v137                               // 000000005F98: 0AB31359
	v_mul_f32_e32 v90, v90, v138                               // 000000005F9C: 0AB5155A
	v_mul_f32_e32 v91, v91, v139                               // 000000005FA0: 0AB7175B
	v_mul_f32_e64 v4, -v92, s6                                 // 000000005FA4: D1050004 20000D5C
	v_mul_f32_e64 v5, -v93, s6                                 // 000000005FAC: D1050005 20000D5D
	v_mul_f32_e64 v6, -v94, s6                                 // 000000005FB4: D1050006 20000D5E
	v_mul_f32_e64 v7, -v95, s6                                 // 000000005FBC: D1050007 20000D5F
	v_exp_f32_e32 v4, v4                                       // 000000005FC4: 7E084104
	v_exp_f32_e32 v5, v5                                       // 000000005FC8: 7E0A4105
	v_exp_f32_e32 v6, v6                                       // 000000005FCC: 7E0C4106
	v_exp_f32_e32 v7, v7                                       // 000000005FD0: 7E0E4107
	v_add_f32_e64 v4, v4, 1.0                                  // 000000005FD4: D1010004 0001E504
	v_add_f32_e64 v5, v5, 1.0                                  // 000000005FDC: D1010005 0001E505
	v_add_f32_e64 v6, v6, 1.0                                  // 000000005FE4: D1010006 0001E506
	v_add_f32_e64 v7, v7, 1.0                                  // 000000005FEC: D1010007 0001E507
	v_rcp_f32_e32 v4, v4                                       // 000000005FF4: 7E084504
	v_rcp_f32_e32 v5, v5                                       // 000000005FF8: 7E0A4505
	v_rcp_f32_e32 v6, v6                                       // 000000005FFC: 7E0C4506
	v_rcp_f32_e32 v7, v7                                       // 000000006000: 7E0E4507
	v_mul_f32_e32 v92, v92, v4                                 // 000000006004: 0AB8095C
	v_mul_f32_e32 v93, v93, v5                                 // 000000006008: 0ABA0B5D
	v_mul_f32_e32 v94, v94, v6                                 // 00000000600C: 0ABC0D5E
	v_mul_f32_e32 v95, v95, v7                                 // 000000006010: 0ABE0F5F
	v_mul_f32_e32 v92, v92, v140                               // 000000006014: 0AB9195C
	v_mul_f32_e32 v93, v93, v141                               // 000000006018: 0ABB1B5D
	v_mul_f32_e32 v94, v94, v142                               // 00000000601C: 0ABD1D5E
	v_mul_f32_e32 v95, v95, v143                               // 000000006020: 0ABF1F5F
	v_mul_f32_e64 v4, -v96, s6                                 // 000000006024: D1050004 20000D60
	v_mul_f32_e64 v5, -v97, s6                                 // 00000000602C: D1050005 20000D61
	v_mul_f32_e64 v6, -v98, s6                                 // 000000006034: D1050006 20000D62
	v_mul_f32_e64 v7, -v99, s6                                 // 00000000603C: D1050007 20000D63
	v_exp_f32_e32 v4, v4                                       // 000000006044: 7E084104
	v_exp_f32_e32 v5, v5                                       // 000000006048: 7E0A4105
	v_exp_f32_e32 v6, v6                                       // 00000000604C: 7E0C4106
	v_exp_f32_e32 v7, v7                                       // 000000006050: 7E0E4107
	v_add_f32_e64 v4, v4, 1.0                                  // 000000006054: D1010004 0001E504
	v_add_f32_e64 v5, v5, 1.0                                  // 00000000605C: D1010005 0001E505
	v_add_f32_e64 v6, v6, 1.0                                  // 000000006064: D1010006 0001E506
	v_add_f32_e64 v7, v7, 1.0                                  // 00000000606C: D1010007 0001E507
	v_rcp_f32_e32 v4, v4                                       // 000000006074: 7E084504
	v_rcp_f32_e32 v5, v5                                       // 000000006078: 7E0A4505
	v_rcp_f32_e32 v6, v6                                       // 00000000607C: 7E0C4506
	v_rcp_f32_e32 v7, v7                                       // 000000006080: 7E0E4507
	v_mul_f32_e32 v96, v96, v4                                 // 000000006084: 0AC00960
	v_mul_f32_e32 v97, v97, v5                                 // 000000006088: 0AC20B61
	v_mul_f32_e32 v98, v98, v6                                 // 00000000608C: 0AC40D62
	v_mul_f32_e32 v99, v99, v7                                 // 000000006090: 0AC60F63
	v_mul_f32_e32 v96, v96, v144                               // 000000006094: 0AC12160
	v_mul_f32_e32 v97, v97, v145                               // 000000006098: 0AC32361
	v_mul_f32_e32 v98, v98, v146                               // 00000000609C: 0AC52562
	v_mul_f32_e32 v99, v99, v147                               // 0000000060A0: 0AC72763

00000000000060a4 <label_0DA9>:
	v_cmp_u_f32_e64 s[46:47], v52, v52                         // 0000000060A4: D048002E 00026934
	v_add3_u32 v16, v52, v19, 1                                // 0000000060AC: D1FF0010 02062734
	v_cndmask_b32_e64 v4, v16, v18, s[46:47]                   // 0000000060B4: D1000004 00BA2510
	v_cmp_u_f32_e64 s[46:47], v53, v53                         // 0000000060BC: D048002E 00026B35
	v_add3_u32 v16, v53, v19, 1                                // 0000000060C4: D1FF0010 02062735
	v_cndmask_b32_e64 v5, v16, v18, s[46:47]                   // 0000000060CC: D1000005 00BA2510
	v_perm_b32 v52, v5, v4, s52                                // 0000000060D4: D1ED0034 00D20905
	v_cmp_u_f32_e64 s[46:47], v54, v54                         // 0000000060DC: D048002E 00026D36
	v_add3_u32 v16, v54, v19, 1                                // 0000000060E4: D1FF0010 02062736
	v_cndmask_b32_e64 v4, v16, v18, s[46:47]                   // 0000000060EC: D1000004 00BA2510
	v_cmp_u_f32_e64 s[46:47], v55, v55                         // 0000000060F4: D048002E 00026F37
	v_add3_u32 v16, v55, v19, 1                                // 0000000060FC: D1FF0010 02062737
	v_cndmask_b32_e64 v5, v16, v18, s[46:47]                   // 000000006104: D1000005 00BA2510
	v_perm_b32 v53, v5, v4, s52                                // 00000000610C: D1ED0035 00D20905
	v_cmp_u_f32_e64 s[46:47], v56, v56                         // 000000006114: D048002E 00027138
	v_add3_u32 v16, v56, v19, 1                                // 00000000611C: D1FF0010 02062738
	v_cndmask_b32_e64 v4, v16, v18, s[46:47]                   // 000000006124: D1000004 00BA2510
	v_cmp_u_f32_e64 s[46:47], v57, v57                         // 00000000612C: D048002E 00027339
	v_add3_u32 v16, v57, v19, 1                                // 000000006134: D1FF0010 02062739
	v_cndmask_b32_e64 v5, v16, v18, s[46:47]                   // 00000000613C: D1000005 00BA2510
	v_perm_b32 v54, v5, v4, s52                                // 000000006144: D1ED0036 00D20905
	v_cmp_u_f32_e64 s[46:47], v58, v58                         // 00000000614C: D048002E 0002753A
	v_add3_u32 v16, v58, v19, 1                                // 000000006154: D1FF0010 0206273A
	v_cndmask_b32_e64 v4, v16, v18, s[46:47]                   // 00000000615C: D1000004 00BA2510
	v_cmp_u_f32_e64 s[46:47], v59, v59                         // 000000006164: D048002E 0002773B
	v_add3_u32 v16, v59, v19, 1                                // 00000000616C: D1FF0010 0206273B
	v_cndmask_b32_e64 v5, v16, v18, s[46:47]                   // 000000006174: D1000005 00BA2510
	v_perm_b32 v55, v5, v4, s52                                // 00000000617C: D1ED0037 00D20905
	v_cmp_u_f32_e64 s[46:47], v60, v60                         // 000000006184: D048002E 0002793C
	v_add3_u32 v16, v60, v19, 1                                // 00000000618C: D1FF0010 0206273C
	v_cndmask_b32_e64 v4, v16, v18, s[46:47]                   // 000000006194: D1000004 00BA2510
	v_cmp_u_f32_e64 s[46:47], v61, v61                         // 00000000619C: D048002E 00027B3D
	v_add3_u32 v16, v61, v19, 1                                // 0000000061A4: D1FF0010 0206273D
	v_cndmask_b32_e64 v5, v16, v18, s[46:47]                   // 0000000061AC: D1000005 00BA2510
	v_perm_b32 v56, v5, v4, s52                                // 0000000061B4: D1ED0038 00D20905
	v_cmp_u_f32_e64 s[46:47], v62, v62                         // 0000000061BC: D048002E 00027D3E
	v_add3_u32 v16, v62, v19, 1                                // 0000000061C4: D1FF0010 0206273E
	v_cndmask_b32_e64 v4, v16, v18, s[46:47]                   // 0000000061CC: D1000004 00BA2510
	v_cmp_u_f32_e64 s[46:47], v63, v63                         // 0000000061D4: D048002E 00027F3F
	v_add3_u32 v16, v63, v19, 1                                // 0000000061DC: D1FF0010 0206273F
	v_cndmask_b32_e64 v5, v16, v18, s[46:47]                   // 0000000061E4: D1000005 00BA2510
	v_perm_b32 v57, v5, v4, s52                                // 0000000061EC: D1ED0039 00D20905
	v_cmp_u_f32_e64 s[46:47], v64, v64                         // 0000000061F4: D048002E 00028140
	v_add3_u32 v16, v64, v19, 1                                // 0000000061FC: D1FF0010 02062740
	v_cndmask_b32_e64 v4, v16, v18, s[46:47]                   // 000000006204: D1000004 00BA2510
	v_cmp_u_f32_e64 s[46:47], v65, v65                         // 00000000620C: D048002E 00028341
	v_add3_u32 v16, v65, v19, 1                                // 000000006214: D1FF0010 02062741
	v_cndmask_b32_e64 v5, v16, v18, s[46:47]                   // 00000000621C: D1000005 00BA2510
	v_perm_b32 v58, v5, v4, s52                                // 000000006224: D1ED003A 00D20905
	v_cmp_u_f32_e64 s[46:47], v66, v66                         // 00000000622C: D048002E 00028542
	v_add3_u32 v16, v66, v19, 1                                // 000000006234: D1FF0010 02062742
	v_cndmask_b32_e64 v4, v16, v18, s[46:47]                   // 00000000623C: D1000004 00BA2510
	v_cmp_u_f32_e64 s[46:47], v67, v67                         // 000000006244: D048002E 00028743
	v_add3_u32 v16, v67, v19, 1                                // 00000000624C: D1FF0010 02062743
	v_cndmask_b32_e64 v5, v16, v18, s[46:47]                   // 000000006254: D1000005 00BA2510
	v_perm_b32 v59, v5, v4, s52                                // 00000000625C: D1ED003B 00D20905
	v_cmp_u_f32_e64 s[46:47], v68, v68                         // 000000006264: D048002E 00028944
	v_add3_u32 v16, v68, v19, 1                                // 00000000626C: D1FF0010 02062744
	v_cndmask_b32_e64 v4, v16, v18, s[46:47]                   // 000000006274: D1000004 00BA2510
	v_cmp_u_f32_e64 s[46:47], v69, v69                         // 00000000627C: D048002E 00028B45
	v_add3_u32 v16, v69, v19, 1                                // 000000006284: D1FF0010 02062745
	v_cndmask_b32_e64 v5, v16, v18, s[46:47]                   // 00000000628C: D1000005 00BA2510
	v_perm_b32 v60, v5, v4, s52                                // 000000006294: D1ED003C 00D20905
	v_cmp_u_f32_e64 s[46:47], v70, v70                         // 00000000629C: D048002E 00028D46
	v_add3_u32 v16, v70, v19, 1                                // 0000000062A4: D1FF0010 02062746
	v_cndmask_b32_e64 v4, v16, v18, s[46:47]                   // 0000000062AC: D1000004 00BA2510
	v_cmp_u_f32_e64 s[46:47], v71, v71                         // 0000000062B4: D048002E 00028F47
	v_add3_u32 v16, v71, v19, 1                                // 0000000062BC: D1FF0010 02062747
	v_cndmask_b32_e64 v5, v16, v18, s[46:47]                   // 0000000062C4: D1000005 00BA2510
	v_perm_b32 v61, v5, v4, s52                                // 0000000062CC: D1ED003D 00D20905
	v_cmp_u_f32_e64 s[46:47], v72, v72                         // 0000000062D4: D048002E 00029148
	v_add3_u32 v16, v72, v19, 1                                // 0000000062DC: D1FF0010 02062748
	v_cndmask_b32_e64 v4, v16, v18, s[46:47]                   // 0000000062E4: D1000004 00BA2510
	v_cmp_u_f32_e64 s[46:47], v73, v73                         // 0000000062EC: D048002E 00029349
	v_add3_u32 v16, v73, v19, 1                                // 0000000062F4: D1FF0010 02062749
	v_cndmask_b32_e64 v5, v16, v18, s[46:47]                   // 0000000062FC: D1000005 00BA2510
	v_perm_b32 v62, v5, v4, s52                                // 000000006304: D1ED003E 00D20905
	v_cmp_u_f32_e64 s[46:47], v74, v74                         // 00000000630C: D048002E 0002954A
	v_add3_u32 v16, v74, v19, 1                                // 000000006314: D1FF0010 0206274A
	v_cndmask_b32_e64 v4, v16, v18, s[46:47]                   // 00000000631C: D1000004 00BA2510
	v_cmp_u_f32_e64 s[46:47], v75, v75                         // 000000006324: D048002E 0002974B
	v_add3_u32 v16, v75, v19, 1                                // 00000000632C: D1FF0010 0206274B
	v_cndmask_b32_e64 v5, v16, v18, s[46:47]                   // 000000006334: D1000005 00BA2510
	v_perm_b32 v63, v5, v4, s52                                // 00000000633C: D1ED003F 00D20905
	v_cmp_u_f32_e64 s[46:47], v76, v76                         // 000000006344: D048002E 0002994C
	v_add3_u32 v16, v76, v19, 1                                // 00000000634C: D1FF0010 0206274C
	v_cndmask_b32_e64 v4, v16, v18, s[46:47]                   // 000000006354: D1000004 00BA2510
	v_cmp_u_f32_e64 s[46:47], v77, v77                         // 00000000635C: D048002E 00029B4D
	v_add3_u32 v16, v77, v19, 1                                // 000000006364: D1FF0010 0206274D
	v_cndmask_b32_e64 v5, v16, v18, s[46:47]                   // 00000000636C: D1000005 00BA2510
	v_perm_b32 v64, v5, v4, s52                                // 000000006374: D1ED0040 00D20905
	v_cmp_u_f32_e64 s[46:47], v78, v78                         // 00000000637C: D048002E 00029D4E
	v_add3_u32 v16, v78, v19, 1                                // 000000006384: D1FF0010 0206274E
	v_cndmask_b32_e64 v4, v16, v18, s[46:47]                   // 00000000638C: D1000004 00BA2510
	v_cmp_u_f32_e64 s[46:47], v79, v79                         // 000000006394: D048002E 00029F4F
	v_add3_u32 v16, v79, v19, 1                                // 00000000639C: D1FF0010 0206274F
	v_cndmask_b32_e64 v5, v16, v18, s[46:47]                   // 0000000063A4: D1000005 00BA2510
	v_perm_b32 v65, v5, v4, s52                                // 0000000063AC: D1ED0041 00D20905
	v_cmp_u_f32_e64 s[46:47], v80, v80                         // 0000000063B4: D048002E 0002A150
	v_add3_u32 v16, v80, v19, 1                                // 0000000063BC: D1FF0010 02062750
	v_cndmask_b32_e64 v4, v16, v18, s[46:47]                   // 0000000063C4: D1000004 00BA2510
	v_cmp_u_f32_e64 s[46:47], v81, v81                         // 0000000063CC: D048002E 0002A351
	v_add3_u32 v16, v81, v19, 1                                // 0000000063D4: D1FF0010 02062751
	v_cndmask_b32_e64 v5, v16, v18, s[46:47]                   // 0000000063DC: D1000005 00BA2510
	v_perm_b32 v66, v5, v4, s52                                // 0000000063E4: D1ED0042 00D20905
	v_cmp_u_f32_e64 s[46:47], v82, v82                         // 0000000063EC: D048002E 0002A552
	v_add3_u32 v16, v82, v19, 1                                // 0000000063F4: D1FF0010 02062752
	v_cndmask_b32_e64 v4, v16, v18, s[46:47]                   // 0000000063FC: D1000004 00BA2510
	v_cmp_u_f32_e64 s[46:47], v83, v83                         // 000000006404: D048002E 0002A753
	v_add3_u32 v16, v83, v19, 1                                // 00000000640C: D1FF0010 02062753
	v_cndmask_b32_e64 v5, v16, v18, s[46:47]                   // 000000006414: D1000005 00BA2510
	v_perm_b32 v67, v5, v4, s52                                // 00000000641C: D1ED0043 00D20905
	v_cmp_u_f32_e64 s[46:47], v84, v84                         // 000000006424: D048002E 0002A954
	v_add3_u32 v16, v84, v19, 1                                // 00000000642C: D1FF0010 02062754
	v_cndmask_b32_e64 v4, v16, v18, s[46:47]                   // 000000006434: D1000004 00BA2510
	v_cmp_u_f32_e64 s[46:47], v85, v85                         // 00000000643C: D048002E 0002AB55
	v_add3_u32 v16, v85, v19, 1                                // 000000006444: D1FF0010 02062755
	v_cndmask_b32_e64 v5, v16, v18, s[46:47]                   // 00000000644C: D1000005 00BA2510
	v_perm_b32 v68, v5, v4, s52                                // 000000006454: D1ED0044 00D20905
	v_cmp_u_f32_e64 s[46:47], v86, v86                         // 00000000645C: D048002E 0002AD56
	v_add3_u32 v16, v86, v19, 1                                // 000000006464: D1FF0010 02062756
	v_cndmask_b32_e64 v4, v16, v18, s[46:47]                   // 00000000646C: D1000004 00BA2510
	v_cmp_u_f32_e64 s[46:47], v87, v87                         // 000000006474: D048002E 0002AF57
	v_add3_u32 v16, v87, v19, 1                                // 00000000647C: D1FF0010 02062757
	v_cndmask_b32_e64 v5, v16, v18, s[46:47]                   // 000000006484: D1000005 00BA2510
	v_perm_b32 v69, v5, v4, s52                                // 00000000648C: D1ED0045 00D20905
	v_cmp_u_f32_e64 s[46:47], v88, v88                         // 000000006494: D048002E 0002B158
	v_add3_u32 v16, v88, v19, 1                                // 00000000649C: D1FF0010 02062758
	v_cndmask_b32_e64 v4, v16, v18, s[46:47]                   // 0000000064A4: D1000004 00BA2510
	v_cmp_u_f32_e64 s[46:47], v89, v89                         // 0000000064AC: D048002E 0002B359
	v_add3_u32 v16, v89, v19, 1                                // 0000000064B4: D1FF0010 02062759
	v_cndmask_b32_e64 v5, v16, v18, s[46:47]                   // 0000000064BC: D1000005 00BA2510
	v_perm_b32 v70, v5, v4, s52                                // 0000000064C4: D1ED0046 00D20905
	v_cmp_u_f32_e64 s[46:47], v90, v90                         // 0000000064CC: D048002E 0002B55A
	v_add3_u32 v16, v90, v19, 1                                // 0000000064D4: D1FF0010 0206275A
	v_cndmask_b32_e64 v4, v16, v18, s[46:47]                   // 0000000064DC: D1000004 00BA2510
	v_cmp_u_f32_e64 s[46:47], v91, v91                         // 0000000064E4: D048002E 0002B75B
	v_add3_u32 v16, v91, v19, 1                                // 0000000064EC: D1FF0010 0206275B
	v_cndmask_b32_e64 v5, v16, v18, s[46:47]                   // 0000000064F4: D1000005 00BA2510
	v_perm_b32 v71, v5, v4, s52                                // 0000000064FC: D1ED0047 00D20905
	v_cmp_u_f32_e64 s[46:47], v92, v92                         // 000000006504: D048002E 0002B95C
	v_add3_u32 v16, v92, v19, 1                                // 00000000650C: D1FF0010 0206275C
	v_cndmask_b32_e64 v4, v16, v18, s[46:47]                   // 000000006514: D1000004 00BA2510
	v_cmp_u_f32_e64 s[46:47], v93, v93                         // 00000000651C: D048002E 0002BB5D
	v_add3_u32 v16, v93, v19, 1                                // 000000006524: D1FF0010 0206275D
	v_cndmask_b32_e64 v5, v16, v18, s[46:47]                   // 00000000652C: D1000005 00BA2510
	v_perm_b32 v72, v5, v4, s52                                // 000000006534: D1ED0048 00D20905
	v_cmp_u_f32_e64 s[46:47], v94, v94                         // 00000000653C: D048002E 0002BD5E
	v_add3_u32 v16, v94, v19, 1                                // 000000006544: D1FF0010 0206275E
	v_cndmask_b32_e64 v4, v16, v18, s[46:47]                   // 00000000654C: D1000004 00BA2510
	v_cmp_u_f32_e64 s[46:47], v95, v95                         // 000000006554: D048002E 0002BF5F
	v_add3_u32 v16, v95, v19, 1                                // 00000000655C: D1FF0010 0206275F
	v_cndmask_b32_e64 v5, v16, v18, s[46:47]                   // 000000006564: D1000005 00BA2510
	v_perm_b32 v73, v5, v4, s52                                // 00000000656C: D1ED0049 00D20905
	v_cmp_u_f32_e64 s[46:47], v96, v96                         // 000000006574: D048002E 0002C160
	v_add3_u32 v16, v96, v19, 1                                // 00000000657C: D1FF0010 02062760
	v_cndmask_b32_e64 v4, v16, v18, s[46:47]                   // 000000006584: D1000004 00BA2510
	v_cmp_u_f32_e64 s[46:47], v97, v97                         // 00000000658C: D048002E 0002C361
	v_add3_u32 v16, v97, v19, 1                                // 000000006594: D1FF0010 02062761
	v_cndmask_b32_e64 v5, v16, v18, s[46:47]                   // 00000000659C: D1000005 00BA2510
	v_perm_b32 v74, v5, v4, s52                                // 0000000065A4: D1ED004A 00D20905
	v_cmp_u_f32_e64 s[46:47], v98, v98                         // 0000000065AC: D048002E 0002C562
	v_add3_u32 v16, v98, v19, 1                                // 0000000065B4: D1FF0010 02062762
	v_cndmask_b32_e64 v4, v16, v18, s[46:47]                   // 0000000065BC: D1000004 00BA2510
	v_cmp_u_f32_e64 s[46:47], v99, v99                         // 0000000065C4: D048002E 0002C763
	v_add3_u32 v16, v99, v19, 1                                // 0000000065CC: D1FF0010 02062763
	v_cndmask_b32_e64 v5, v16, v18, s[46:47]                   // 0000000065D4: D1000005 00BA2510
	v_perm_b32 v75, v5, v4, s52                                // 0000000065DC: D1ED004B 00D20905
	ds_write_b64 v20, v[52:53]                                 // 0000000065E4: D89A0000 00003414
	ds_write_b64 v20, v[54:55] offset:8704                     // 0000000065EC: D89A2200 00003614
	ds_write_b64 v20, v[56:57] offset:17408                    // 0000000065F4: D89A4400 00003814
	ds_write_b64 v20, v[58:59] offset:2176                     // 0000000065FC: D89A0880 00003A14
	ds_write_b64 v20, v[60:61] offset:10880                    // 000000006604: D89A2A80 00003C14
	ds_write_b64 v20, v[62:63] offset:19584                    // 00000000660C: D89A4C80 00003E14
	ds_write_b64 v20, v[64:65] offset:4352                     // 000000006614: D89A1100 00004014
	ds_write_b64 v20, v[66:67] offset:13056                    // 00000000661C: D89A3300 00004214
	ds_write_b64 v20, v[68:69] offset:21760                    // 000000006624: D89A5500 00004414
	ds_write_b64 v20, v[70:71] offset:6528                     // 00000000662C: D89A1980 00004614
	ds_write_b64 v20, v[72:73] offset:15232                    // 000000006634: D89A3B80 00004814
	ds_write_b64 v20, v[74:75] offset:23936                    // 00000000663C: D89A5D80 00004A14
	v_lshrrev_b32_e32 v4, 5, v0                                // 000000006644: 20080085
	v_xor_b32_e32 v5, 1, v4                                    // 000000006648: 2A0A0881
	s_mul_i32 s60, s65, 2                                      // 00000000664C: 923C8241
	s_cmp_eq_u32 s88, 0                                        // 000000006650: BF068058
	s_cselect_b32 s61, 1, 4                                    // 000000006654: 853D8481
	s_mul_i32 s60, s61, s60                                    // 000000006658: 923C3C3D
	v_readlane_b32 s82, v3, 0                                  // 00000000665C: D2890052 00010103
	s_lshr_b32 s61, s82, 24                                    // 000000006664: 8F3D9852
	s_and_b32 s82, s82, 0xffffff                               // 000000006668: 8652FF52 00FFFFFF
	s_mul_i32 s82, s82, s71                                    // 000000006670: 92524752
	s_mul_i32 s61, s60, s61                                    // 000000006674: 923D3D3C
	s_add_u32 s82, s82, s61                                    // 000000006678: 80523D52
	v_mul_lo_u32 v6, v5, s82                                   // 00000000667C: D2850006 0000A505
	v_readlane_b32 s82, v3, 1                                  // 000000006684: D2890052 00010303
	s_lshr_b32 s61, s82, 24                                    // 00000000668C: 8F3D9852
	s_and_b32 s82, s82, 0xffffff                               // 000000006690: 8652FF52 00FFFFFF
	s_mul_i32 s82, s82, s71                                    // 000000006698: 92524752
	s_mul_i32 s61, s60, s61                                    // 00000000669C: 923D3D3C
	s_add_u32 s82, s82, s61                                    // 0000000066A0: 80523D52
	v_mul_lo_u32 v7, v4, s82                                   // 0000000066A4: D2850007 0000A504
	v_add_u32_e32 v42, v6, v7                                  // 0000000066AC: 68540F06
	v_readlane_b32 s82, v3, 2                                  // 0000000066B0: D2890052 00010503
	s_lshr_b32 s61, s82, 24                                    // 0000000066B8: 8F3D9852
	s_and_b32 s82, s82, 0xffffff                               // 0000000066BC: 8652FF52 00FFFFFF
	s_mul_i32 s82, s82, s71                                    // 0000000066C4: 92524752
	s_mul_i32 s61, s60, s61                                    // 0000000066C8: 923D3D3C
	s_add_u32 s82, s82, s61                                    // 0000000066CC: 80523D52
	v_mul_lo_u32 v6, v5, s82                                   // 0000000066D0: D2850006 0000A505
	v_readlane_b32 s82, v3, 3                                  // 0000000066D8: D2890052 00010703
	s_lshr_b32 s61, s82, 24                                    // 0000000066E0: 8F3D9852
	s_and_b32 s82, s82, 0xffffff                               // 0000000066E4: 8652FF52 00FFFFFF
	s_mul_i32 s82, s82, s71                                    // 0000000066EC: 92524752
	s_mul_i32 s61, s60, s61                                    // 0000000066F0: 923D3D3C
	s_add_u32 s82, s82, s61                                    // 0000000066F4: 80523D52
	v_mul_lo_u32 v7, v4, s82                                   // 0000000066F8: D2850007 0000A504
	v_add_u32_e32 v43, v6, v7                                  // 000000006700: 68560F06
	v_readlane_b32 s82, v3, 4                                  // 000000006704: D2890052 00010903
	s_lshr_b32 s61, s82, 24                                    // 00000000670C: 8F3D9852
	s_and_b32 s82, s82, 0xffffff                               // 000000006710: 8652FF52 00FFFFFF
	s_mul_i32 s82, s82, s71                                    // 000000006718: 92524752
	s_mul_i32 s61, s60, s61                                    // 00000000671C: 923D3D3C
	s_add_u32 s82, s82, s61                                    // 000000006720: 80523D52
	v_mul_lo_u32 v6, v5, s82                                   // 000000006724: D2850006 0000A505
	v_readlane_b32 s82, v3, 5                                  // 00000000672C: D2890052 00010B03
	s_lshr_b32 s61, s82, 24                                    // 000000006734: 8F3D9852
	s_and_b32 s82, s82, 0xffffff                               // 000000006738: 8652FF52 00FFFFFF
	s_mul_i32 s82, s82, s71                                    // 000000006740: 92524752
	s_mul_i32 s61, s60, s61                                    // 000000006744: 923D3D3C
	s_add_u32 s82, s82, s61                                    // 000000006748: 80523D52
	v_mul_lo_u32 v7, v4, s82                                   // 00000000674C: D2850007 0000A504
	v_add_u32_e32 v44, v6, v7                                  // 000000006754: 68580F06
	v_readlane_b32 s82, v3, 6                                  // 000000006758: D2890052 00010D03
	s_lshr_b32 s61, s82, 24                                    // 000000006760: 8F3D9852
	s_and_b32 s82, s82, 0xffffff                               // 000000006764: 8652FF52 00FFFFFF
	s_mul_i32 s82, s82, s71                                    // 00000000676C: 92524752
	s_mul_i32 s61, s60, s61                                    // 000000006770: 923D3D3C
	s_add_u32 s82, s82, s61                                    // 000000006774: 80523D52
	v_mul_lo_u32 v6, v5, s82                                   // 000000006778: D2850006 0000A505
	v_readlane_b32 s82, v3, 7                                  // 000000006780: D2890052 00010F03
	s_lshr_b32 s61, s82, 24                                    // 000000006788: 8F3D9852
	s_and_b32 s82, s82, 0xffffff                               // 00000000678C: 8652FF52 00FFFFFF
	s_mul_i32 s82, s82, s71                                    // 000000006794: 92524752
	s_mul_i32 s61, s60, s61                                    // 000000006798: 923D3D3C
	s_add_u32 s82, s82, s61                                    // 00000000679C: 80523D52
	v_mul_lo_u32 v7, v4, s82                                   // 0000000067A0: D2850007 0000A504
	v_add_u32_e32 v45, v6, v7                                  // 0000000067A8: 685A0F06
	v_readlane_b32 s82, v3, 8                                  // 0000000067AC: D2890052 00011103
	s_lshr_b32 s61, s82, 24                                    // 0000000067B4: 8F3D9852
	s_and_b32 s82, s82, 0xffffff                               // 0000000067B8: 8652FF52 00FFFFFF
	s_mul_i32 s82, s82, s71                                    // 0000000067C0: 92524752
	s_mul_i32 s61, s60, s61                                    // 0000000067C4: 923D3D3C
	s_add_u32 s82, s82, s61                                    // 0000000067C8: 80523D52
	v_mul_lo_u32 v6, v5, s82                                   // 0000000067CC: D2850006 0000A505
	v_readlane_b32 s82, v3, 9                                  // 0000000067D4: D2890052 00011303
	s_lshr_b32 s61, s82, 24                                    // 0000000067DC: 8F3D9852
	s_and_b32 s82, s82, 0xffffff                               // 0000000067E0: 8652FF52 00FFFFFF
	s_mul_i32 s82, s82, s71                                    // 0000000067E8: 92524752
	s_mul_i32 s61, s60, s61                                    // 0000000067EC: 923D3D3C
	s_add_u32 s82, s82, s61                                    // 0000000067F0: 80523D52
	v_mul_lo_u32 v7, v4, s82                                   // 0000000067F4: D2850007 0000A504
	v_add_u32_e32 v46, v6, v7                                  // 0000000067FC: 685C0F06
	v_readlane_b32 s82, v3, 10                                 // 000000006800: D2890052 00011503
	s_lshr_b32 s61, s82, 24                                    // 000000006808: 8F3D9852
	s_and_b32 s82, s82, 0xffffff                               // 00000000680C: 8652FF52 00FFFFFF
	s_mul_i32 s82, s82, s71                                    // 000000006814: 92524752
	s_mul_i32 s61, s60, s61                                    // 000000006818: 923D3D3C
	s_add_u32 s82, s82, s61                                    // 00000000681C: 80523D52
	v_mul_lo_u32 v6, v5, s82                                   // 000000006820: D2850006 0000A505
	v_readlane_b32 s82, v3, 11                                 // 000000006828: D2890052 00011703
	s_lshr_b32 s61, s82, 24                                    // 000000006830: 8F3D9852
	s_and_b32 s82, s82, 0xffffff                               // 000000006834: 8652FF52 00FFFFFF
	s_mul_i32 s82, s82, s71                                    // 00000000683C: 92524752
	s_mul_i32 s61, s60, s61                                    // 000000006840: 923D3D3C
	s_add_u32 s82, s82, s61                                    // 000000006844: 80523D52
	v_mul_lo_u32 v7, v4, s82                                   // 000000006848: D2850007 0000A504
	v_add_u32_e32 v47, v6, v7                                  // 000000006850: 685E0F06
	v_and_b32_e32 v4, 31, v0                                   // 000000006854: 2608009F
	v_lshrrev_b32_e32 v4, 1, v4                                // 000000006858: 20080881
	s_cmp_eq_u32 s88, 0                                        // 00000000685C: BF068058
	s_cselect_b32 s61, 2, 4                                    // 000000006860: 853D8482
	v_mul_lo_u32 v4, v4, s61                                   // 000000006864: D2850004 00007B04
	v_and_b32_e64 v5, v0, 1                                    // 00000000686C: D1130005 00010300
	v_add_u32_e32 v4, v4, v5                                   // 000000006874: 68080B04
	v_lshlrev_b32_e32 v4, 2, v4                                // 000000006878: 24080882
	v_add_u32_e32 v42, v42, v4                                 // 00000000687C: 6854092A
	v_add_u32_e32 v43, v43, v4                                 // 000000006880: 6856092B
	v_add_u32_e32 v44, v44, v4                                 // 000000006884: 6858092C
	v_add_u32_e32 v45, v45, v4                                 // 000000006888: 685A092D
	v_add_u32_e32 v46, v46, v4                                 // 00000000688C: 685C092E
	v_add_u32_e32 v47, v47, v4                                 // 000000006890: 685E092F
	s_waitcnt lgkmcnt(0)                                       // 000000006894: BF8CC07F
	s_barrier                                                  // 000000006898: BF8A0000
	ds_read_b32 v52, v21                                       // 00000000689C: D86C0000 34000015
	ds_read_b32 v53, v21 offset:64                             // 0000000068A4: D86C0040 35000015
	ds_read_b32 v54, v21 offset:2176                           // 0000000068AC: D86C0880 36000015
	ds_read_b32 v55, v21 offset:2240                           // 0000000068B4: D86C08C0 37000015
	ds_read_b32 v56, v21 offset:4352                           // 0000000068BC: D86C1100 38000015
	ds_read_b32 v57, v21 offset:4416                           // 0000000068C4: D86C1140 39000015
	ds_read_b32 v58, v21 offset:6528                           // 0000000068CC: D86C1980 3A000015
	ds_read_b32 v59, v21 offset:6592                           // 0000000068D4: D86C19C0 3B000015
	ds_read_b32 v60, v21 offset:8704                           // 0000000068DC: D86C2200 3C000015
	ds_read_b32 v61, v21 offset:8768                           // 0000000068E4: D86C2240 3D000015
	ds_read_b32 v62, v21 offset:10880                          // 0000000068EC: D86C2A80 3E000015
	ds_read_b32 v63, v21 offset:10944                          // 0000000068F4: D86C2AC0 3F000015
	ds_read_b32 v64, v21 offset:13056                          // 0000000068FC: D86C3300 40000015
	ds_read_b32 v65, v21 offset:13120                          // 000000006904: D86C3340 41000015
	ds_read_b32 v66, v21 offset:15232                          // 00000000690C: D86C3B80 42000015
	ds_read_b32 v67, v21 offset:15296                          // 000000006914: D86C3BC0 43000015
	ds_read_b32 v68, v21 offset:17408                          // 00000000691C: D86C4400 44000015
	ds_read_b32 v69, v21 offset:17472                          // 000000006924: D86C4440 45000015
	ds_read_b32 v70, v21 offset:19584                          // 00000000692C: D86C4C80 46000015
	ds_read_b32 v71, v21 offset:19648                          // 000000006934: D86C4CC0 47000015
	ds_read_b32 v72, v21 offset:21760                          // 00000000693C: D86C5500 48000015
	ds_read_b32 v73, v21 offset:21824                          // 000000006944: D86C5540 49000015
	ds_read_b32 v74, v21 offset:23936                          // 00000000694C: D86C5D80 4A000015
	ds_read_b32 v75, v21 offset:24000                          // 000000006954: D86C5DC0 4B000015
	s_waitcnt lgkmcnt(0)                                       // 00000000695C: BF8CC07F
	s_mov_b32 s36, -1                                          // 000000006960: BEA400C1
	s_mov_b32 s37, -1                                          // 000000006964: BEA500C1
	v_mov_b32_e32 v7, 0                                        // 000000006968: 7E0E0280
	s_or_b32 s9, s9, 0x40000                                   // 00000000696C: 8709FF09 00040000
	s_mov_b64 exec, s[36:37]                                   // 000000006974: BEFE0124
	v_mov_b32_e32 v6, v42                                      // 000000006978: 7E0C032A
	s_mov_b64 s[60:61], 0                                      // 00000000697C: BEBC0180
	v_readlane_b32 s82, v3, 0                                  // 000000006980: D2890052 00010103
	s_and_b32 s82, s82, 0xffffff                               // 000000006988: 8652FF52 00FFFFFF
	s_cmp_lt_u32 s82, s66                                      // 000000006990: BF0A4252
	s_cselect_b32 s20, s36, s60                                // 000000006994: 85143C24
	v_readlane_b32 s82, v3, 1                                  // 000000006998: D2890052 00010303
	s_and_b32 s82, s82, 0xffffff                               // 0000000069A0: 8652FF52 00FFFFFF
	s_cmp_lt_u32 s82, s66                                      // 0000000069A8: BF0A4252
	s_cselect_b32 s21, s36, s60                                // 0000000069AC: 85153C24
	s_mov_b64 exec, s[20:21]                                   // 0000000069B0: BEFE0114
	buffer_store_dword v52, v6, s[8:11], 0 offen               // 0000000069B4: E0701000 80023406
	buffer_store_dword v54, v6, s[8:11], 0 offen offset:128    // 0000000069BC: E0701080 80023606
	buffer_store_dword v56, v6, s[8:11], 0 offen offset:256    // 0000000069C4: E0701100 80023806
	buffer_store_dword v58, v6, s[8:11], 0 offen offset:384    // 0000000069CC: E0701180 80023A06
	s_mov_b64 exec, s[36:37]                                   // 0000000069D4: BEFE0124
	v_mov_b32_e32 v6, v43                                      // 0000000069D8: 7E0C032B
	s_mov_b64 s[60:61], 0                                      // 0000000069DC: BEBC0180
	v_readlane_b32 s82, v3, 2                                  // 0000000069E0: D2890052 00010503
	s_and_b32 s82, s82, 0xffffff                               // 0000000069E8: 8652FF52 00FFFFFF
	s_cmp_lt_u32 s82, s66                                      // 0000000069F0: BF0A4252
	s_cselect_b32 s20, s36, s60                                // 0000000069F4: 85143C24
	v_readlane_b32 s82, v3, 3                                  // 0000000069F8: D2890052 00010703
	s_and_b32 s82, s82, 0xffffff                               // 000000006A00: 8652FF52 00FFFFFF
	s_cmp_lt_u32 s82, s66                                      // 000000006A08: BF0A4252
	s_cselect_b32 s21, s36, s60                                // 000000006A0C: 85153C24
	s_mov_b64 exec, s[20:21]                                   // 000000006A10: BEFE0114
	buffer_store_dword v53, v6, s[8:11], 0 offen               // 000000006A14: E0701000 80023506
	buffer_store_dword v55, v6, s[8:11], 0 offen offset:128    // 000000006A1C: E0701080 80023706
	buffer_store_dword v57, v6, s[8:11], 0 offen offset:256    // 000000006A24: E0701100 80023906
	buffer_store_dword v59, v6, s[8:11], 0 offen offset:384    // 000000006A2C: E0701180 80023B06
	s_mov_b64 exec, s[36:37]                                   // 000000006A34: BEFE0124
	v_mov_b32_e32 v6, v44                                      // 000000006A38: 7E0C032C
	s_mov_b64 s[60:61], 0                                      // 000000006A3C: BEBC0180
	v_readlane_b32 s82, v3, 4                                  // 000000006A40: D2890052 00010903
	s_and_b32 s82, s82, 0xffffff                               // 000000006A48: 8652FF52 00FFFFFF
	s_cmp_lt_u32 s82, s66                                      // 000000006A50: BF0A4252
	s_cselect_b32 s20, s36, s60                                // 000000006A54: 85143C24
	v_readlane_b32 s82, v3, 5                                  // 000000006A58: D2890052 00010B03
	s_and_b32 s82, s82, 0xffffff                               // 000000006A60: 8652FF52 00FFFFFF
	s_cmp_lt_u32 s82, s66                                      // 000000006A68: BF0A4252
	s_cselect_b32 s21, s36, s60                                // 000000006A6C: 85153C24
	s_mov_b64 exec, s[20:21]                                   // 000000006A70: BEFE0114
	buffer_store_dword v60, v6, s[8:11], 0 offen               // 000000006A74: E0701000 80023C06
	buffer_store_dword v62, v6, s[8:11], 0 offen offset:128    // 000000006A7C: E0701080 80023E06
	buffer_store_dword v64, v6, s[8:11], 0 offen offset:256    // 000000006A84: E0701100 80024006
	buffer_store_dword v66, v6, s[8:11], 0 offen offset:384    // 000000006A8C: E0701180 80024206
	s_mov_b64 exec, s[36:37]                                   // 000000006A94: BEFE0124
	v_mov_b32_e32 v6, v45                                      // 000000006A98: 7E0C032D
	s_mov_b64 s[60:61], 0                                      // 000000006A9C: BEBC0180
	v_readlane_b32 s82, v3, 6                                  // 000000006AA0: D2890052 00010D03
	s_and_b32 s82, s82, 0xffffff                               // 000000006AA8: 8652FF52 00FFFFFF
	s_cmp_lt_u32 s82, s66                                      // 000000006AB0: BF0A4252
	s_cselect_b32 s20, s36, s60                                // 000000006AB4: 85143C24
	v_readlane_b32 s82, v3, 7                                  // 000000006AB8: D2890052 00010F03
	s_and_b32 s82, s82, 0xffffff                               // 000000006AC0: 8652FF52 00FFFFFF
	s_cmp_lt_u32 s82, s66                                      // 000000006AC8: BF0A4252
	s_cselect_b32 s21, s36, s60                                // 000000006ACC: 85153C24
	s_mov_b64 exec, s[20:21]                                   // 000000006AD0: BEFE0114
	buffer_store_dword v61, v6, s[8:11], 0 offen               // 000000006AD4: E0701000 80023D06
	buffer_store_dword v63, v6, s[8:11], 0 offen offset:128    // 000000006ADC: E0701080 80023F06
	buffer_store_dword v65, v6, s[8:11], 0 offen offset:256    // 000000006AE4: E0701100 80024106
	buffer_store_dword v67, v6, s[8:11], 0 offen offset:384    // 000000006AEC: E0701180 80024306
	s_mov_b64 exec, s[36:37]                                   // 000000006AF4: BEFE0124
	v_mov_b32_e32 v6, v46                                      // 000000006AF8: 7E0C032E
	s_mov_b64 s[60:61], 0                                      // 000000006AFC: BEBC0180
	v_readlane_b32 s82, v3, 8                                  // 000000006B00: D2890052 00011103
	s_and_b32 s82, s82, 0xffffff                               // 000000006B08: 8652FF52 00FFFFFF
	s_cmp_lt_u32 s82, s66                                      // 000000006B10: BF0A4252
	s_cselect_b32 s20, s36, s60                                // 000000006B14: 85143C24
	v_readlane_b32 s82, v3, 9                                  // 000000006B18: D2890052 00011303
	s_and_b32 s82, s82, 0xffffff                               // 000000006B20: 8652FF52 00FFFFFF
	s_cmp_lt_u32 s82, s66                                      // 000000006B28: BF0A4252
	s_cselect_b32 s21, s36, s60                                // 000000006B2C: 85153C24
	s_mov_b64 exec, s[20:21]                                   // 000000006B30: BEFE0114
	buffer_store_dword v68, v6, s[8:11], 0 offen               // 000000006B34: E0701000 80024406
	buffer_store_dword v70, v6, s[8:11], 0 offen offset:128    // 000000006B3C: E0701080 80024606
	buffer_store_dword v72, v6, s[8:11], 0 offen offset:256    // 000000006B44: E0701100 80024806
	buffer_store_dword v74, v6, s[8:11], 0 offen offset:384    // 000000006B4C: E0701180 80024A06
	s_mov_b64 exec, s[36:37]                                   // 000000006B54: BEFE0124
	v_mov_b32_e32 v6, v47                                      // 000000006B58: 7E0C032F
	s_mov_b64 s[60:61], 0                                      // 000000006B5C: BEBC0180
	v_readlane_b32 s82, v3, 10                                 // 000000006B60: D2890052 00011503
	s_and_b32 s82, s82, 0xffffff                               // 000000006B68: 8652FF52 00FFFFFF
	s_cmp_lt_u32 s82, s66                                      // 000000006B70: BF0A4252
	s_cselect_b32 s20, s36, s60                                // 000000006B74: 85143C24
	v_readlane_b32 s82, v3, 11                                 // 000000006B78: D2890052 00011703
	s_and_b32 s82, s82, 0xffffff                               // 000000006B80: 8652FF52 00FFFFFF
	s_cmp_lt_u32 s82, s66                                      // 000000006B88: BF0A4252
	s_cselect_b32 s21, s36, s60                                // 000000006B8C: 85153C24
	s_mov_b64 exec, s[20:21]                                   // 000000006B90: BEFE0114
	buffer_store_dword v69, v6, s[8:11], 0 offen               // 000000006B94: E0701000 80024506
	buffer_store_dword v71, v6, s[8:11], 0 offen offset:128    // 000000006B9C: E0701080 80024706
	buffer_store_dword v73, v6, s[8:11], 0 offen offset:256    // 000000006BA4: E0701100 80024906
	buffer_store_dword v75, v6, s[8:11], 0 offen offset:384    // 000000006BAC: E0701180 80024B06
	s_mov_b64 exec, s[36:37]                                   // 000000006BB4: BEFE0124
	s_branch label_2689                                        // 000000006BB8: BF821617

0000000000006bbc <label_106F>:
	ds_write_b64 v20, v[52:53]                                 // 000000006BBC: D89A0000 00003414
	ds_write_b64 v20, v[56:57] offset:8704                     // 000000006BC4: D89A2200 00003814
	ds_write_b64 v20, v[60:61] offset:17408                    // 000000006BCC: D89A4400 00003C14
	ds_write_b64 v20, v[64:65] offset:2176                     // 000000006BD4: D89A0880 00004014
	ds_write_b64 v20, v[68:69] offset:10880                    // 000000006BDC: D89A2A80 00004414
	ds_write_b64 v20, v[72:73] offset:19584                    // 000000006BE4: D89A4C80 00004814
	ds_write_b64 v20, v[76:77] offset:4352                     // 000000006BEC: D89A1100 00004C14
	ds_write_b64 v20, v[80:81] offset:13056                    // 000000006BF4: D89A3300 00005014
	ds_write_b64 v20, v[84:85] offset:21760                    // 000000006BFC: D89A5500 00005414
	ds_write_b64 v20, v[88:89] offset:6528                     // 000000006C04: D89A1980 00005814
	ds_write_b64 v20, v[92:93] offset:15232                    // 000000006C0C: D89A3B80 00005C14
	ds_write_b64 v20, v[96:97] offset:23936                    // 000000006C14: D89A5D80 00006014
	v_lshrrev_b32_e32 v4, 5, v0                                // 000000006C1C: 20080085
	v_xor_b32_e32 v5, 1, v4                                    // 000000006C20: 2A0A0881
	s_mul_i32 s60, s65, 2                                      // 000000006C24: 923C8241
	s_cmp_eq_u32 s88, 0                                        // 000000006C28: BF068058
	s_cselect_b32 s61, 1, 4                                    // 000000006C2C: 853D8481
	s_mul_i32 s60, s61, s60                                    // 000000006C30: 923C3C3D
	v_readlane_b32 s82, v3, 0                                  // 000000006C34: D2890052 00010103
	s_lshr_b32 s61, s82, 24                                    // 000000006C3C: 8F3D9852
	s_and_b32 s82, s82, 0xffffff                               // 000000006C40: 8652FF52 00FFFFFF
	s_mul_i32 s82, s82, s71                                    // 000000006C48: 92524752
	s_mul_i32 s61, s60, s61                                    // 000000006C4C: 923D3D3C
	s_add_u32 s82, s82, s61                                    // 000000006C50: 80523D52
	v_mul_lo_u32 v6, v5, s82                                   // 000000006C54: D2850006 0000A505
	v_readlane_b32 s82, v3, 1                                  // 000000006C5C: D2890052 00010303
	s_lshr_b32 s61, s82, 24                                    // 000000006C64: 8F3D9852
	s_and_b32 s82, s82, 0xffffff                               // 000000006C68: 8652FF52 00FFFFFF
	s_mul_i32 s82, s82, s71                                    // 000000006C70: 92524752
	s_mul_i32 s61, s60, s61                                    // 000000006C74: 923D3D3C
	s_add_u32 s82, s82, s61                                    // 000000006C78: 80523D52
	v_mul_lo_u32 v7, v4, s82                                   // 000000006C7C: D2850007 0000A504
	v_add_u32_e32 v42, v6, v7                                  // 000000006C84: 68540F06
	v_readlane_b32 s82, v3, 2                                  // 000000006C88: D2890052 00010503
	s_lshr_b32 s61, s82, 24                                    // 000000006C90: 8F3D9852
	s_and_b32 s82, s82, 0xffffff                               // 000000006C94: 8652FF52 00FFFFFF
	s_mul_i32 s82, s82, s71                                    // 000000006C9C: 92524752
	s_mul_i32 s61, s60, s61                                    // 000000006CA0: 923D3D3C
	s_add_u32 s82, s82, s61                                    // 000000006CA4: 80523D52
	v_mul_lo_u32 v6, v5, s82                                   // 000000006CA8: D2850006 0000A505
	v_readlane_b32 s82, v3, 3                                  // 000000006CB0: D2890052 00010703
	s_lshr_b32 s61, s82, 24                                    // 000000006CB8: 8F3D9852
	s_and_b32 s82, s82, 0xffffff                               // 000000006CBC: 8652FF52 00FFFFFF
	s_mul_i32 s82, s82, s71                                    // 000000006CC4: 92524752
	s_mul_i32 s61, s60, s61                                    // 000000006CC8: 923D3D3C
	s_add_u32 s82, s82, s61                                    // 000000006CCC: 80523D52
	v_mul_lo_u32 v7, v4, s82                                   // 000000006CD0: D2850007 0000A504
	v_add_u32_e32 v43, v6, v7                                  // 000000006CD8: 68560F06
	v_readlane_b32 s82, v3, 4                                  // 000000006CDC: D2890052 00010903
	s_lshr_b32 s61, s82, 24                                    // 000000006CE4: 8F3D9852
	s_and_b32 s82, s82, 0xffffff                               // 000000006CE8: 8652FF52 00FFFFFF
	s_mul_i32 s82, s82, s71                                    // 000000006CF0: 92524752
	s_mul_i32 s61, s60, s61                                    // 000000006CF4: 923D3D3C
	s_add_u32 s82, s82, s61                                    // 000000006CF8: 80523D52
	v_mul_lo_u32 v6, v5, s82                                   // 000000006CFC: D2850006 0000A505
	v_readlane_b32 s82, v3, 5                                  // 000000006D04: D2890052 00010B03
	s_lshr_b32 s61, s82, 24                                    // 000000006D0C: 8F3D9852
	s_and_b32 s82, s82, 0xffffff                               // 000000006D10: 8652FF52 00FFFFFF
	s_mul_i32 s82, s82, s71                                    // 000000006D18: 92524752
	s_mul_i32 s61, s60, s61                                    // 000000006D1C: 923D3D3C
	s_add_u32 s82, s82, s61                                    // 000000006D20: 80523D52
	v_mul_lo_u32 v7, v4, s82                                   // 000000006D24: D2850007 0000A504
	v_add_u32_e32 v44, v6, v7                                  // 000000006D2C: 68580F06
	v_readlane_b32 s82, v3, 6                                  // 000000006D30: D2890052 00010D03
	s_lshr_b32 s61, s82, 24                                    // 000000006D38: 8F3D9852
	s_and_b32 s82, s82, 0xffffff                               // 000000006D3C: 8652FF52 00FFFFFF
	s_mul_i32 s82, s82, s71                                    // 000000006D44: 92524752
	s_mul_i32 s61, s60, s61                                    // 000000006D48: 923D3D3C
	s_add_u32 s82, s82, s61                                    // 000000006D4C: 80523D52
	v_mul_lo_u32 v6, v5, s82                                   // 000000006D50: D2850006 0000A505
	v_readlane_b32 s82, v3, 7                                  // 000000006D58: D2890052 00010F03
	s_lshr_b32 s61, s82, 24                                    // 000000006D60: 8F3D9852
	s_and_b32 s82, s82, 0xffffff                               // 000000006D64: 8652FF52 00FFFFFF
	s_mul_i32 s82, s82, s71                                    // 000000006D6C: 92524752
	s_mul_i32 s61, s60, s61                                    // 000000006D70: 923D3D3C
	s_add_u32 s82, s82, s61                                    // 000000006D74: 80523D52
	v_mul_lo_u32 v7, v4, s82                                   // 000000006D78: D2850007 0000A504
	v_add_u32_e32 v45, v6, v7                                  // 000000006D80: 685A0F06
	v_readlane_b32 s82, v3, 8                                  // 000000006D84: D2890052 00011103
	s_lshr_b32 s61, s82, 24                                    // 000000006D8C: 8F3D9852
	s_and_b32 s82, s82, 0xffffff                               // 000000006D90: 8652FF52 00FFFFFF
	s_mul_i32 s82, s82, s71                                    // 000000006D98: 92524752
	s_mul_i32 s61, s60, s61                                    // 000000006D9C: 923D3D3C
	s_add_u32 s82, s82, s61                                    // 000000006DA0: 80523D52
	v_mul_lo_u32 v6, v5, s82                                   // 000000006DA4: D2850006 0000A505
	v_readlane_b32 s82, v3, 9                                  // 000000006DAC: D2890052 00011303
	s_lshr_b32 s61, s82, 24                                    // 000000006DB4: 8F3D9852
	s_and_b32 s82, s82, 0xffffff                               // 000000006DB8: 8652FF52 00FFFFFF
	s_mul_i32 s82, s82, s71                                    // 000000006DC0: 92524752
	s_mul_i32 s61, s60, s61                                    // 000000006DC4: 923D3D3C
	s_add_u32 s82, s82, s61                                    // 000000006DC8: 80523D52
	v_mul_lo_u32 v7, v4, s82                                   // 000000006DCC: D2850007 0000A504
	v_add_u32_e32 v46, v6, v7                                  // 000000006DD4: 685C0F06
	v_readlane_b32 s82, v3, 10                                 // 000000006DD8: D2890052 00011503
	s_lshr_b32 s61, s82, 24                                    // 000000006DE0: 8F3D9852
	s_and_b32 s82, s82, 0xffffff                               // 000000006DE4: 8652FF52 00FFFFFF
	s_mul_i32 s82, s82, s71                                    // 000000006DEC: 92524752
	s_mul_i32 s61, s60, s61                                    // 000000006DF0: 923D3D3C
	s_add_u32 s82, s82, s61                                    // 000000006DF4: 80523D52
	v_mul_lo_u32 v6, v5, s82                                   // 000000006DF8: D2850006 0000A505
	v_readlane_b32 s82, v3, 11                                 // 000000006E00: D2890052 00011703
	s_lshr_b32 s61, s82, 24                                    // 000000006E08: 8F3D9852
	s_and_b32 s82, s82, 0xffffff                               // 000000006E0C: 8652FF52 00FFFFFF
	s_mul_i32 s82, s82, s71                                    // 000000006E14: 92524752
	s_mul_i32 s61, s60, s61                                    // 000000006E18: 923D3D3C
	s_add_u32 s82, s82, s61                                    // 000000006E1C: 80523D52
	v_mul_lo_u32 v7, v4, s82                                   // 000000006E20: D2850007 0000A504
	v_add_u32_e32 v47, v6, v7                                  // 000000006E28: 685E0F06
	v_and_b32_e32 v4, 31, v0                                   // 000000006E2C: 2608009F
	v_lshrrev_b32_e32 v4, 1, v4                                // 000000006E30: 20080881
	s_cmp_eq_u32 s88, 0                                        // 000000006E34: BF068058
	s_cselect_b32 s61, 2, 4                                    // 000000006E38: 853D8482
	v_mul_lo_u32 v4, v4, s61                                   // 000000006E3C: D2850004 00007B04
	v_and_b32_e64 v5, v0, 1                                    // 000000006E44: D1130005 00010300
	v_add_u32_e32 v4, v4, v5                                   // 000000006E4C: 68080B04
	v_lshlrev_b32_e32 v4, 2, v4                                // 000000006E50: 24080882
	v_add_u32_e32 v42, v42, v4                                 // 000000006E54: 6854092A
	v_add_u32_e32 v43, v43, v4                                 // 000000006E58: 6856092B
	v_add_u32_e32 v44, v44, v4                                 // 000000006E5C: 6858092C
	v_add_u32_e32 v45, v45, v4                                 // 000000006E60: 685A092D
	v_add_u32_e32 v46, v46, v4                                 // 000000006E64: 685C092E
	v_add_u32_e32 v47, v47, v4                                 // 000000006E68: 685E092F
	s_waitcnt lgkmcnt(0)                                       // 000000006E6C: BF8CC07F
	s_barrier                                                  // 000000006E70: BF8A0000
	ds_read_b32 v52, v21                                       // 000000006E74: D86C0000 34000015
	ds_read_b32 v53, v21 offset:64                             // 000000006E7C: D86C0040 35000015
	ds_read_b32 v56, v21 offset:2176                           // 000000006E84: D86C0880 38000015
	ds_read_b32 v57, v21 offset:2240                           // 000000006E8C: D86C08C0 39000015
	ds_read_b32 v60, v21 offset:4352                           // 000000006E94: D86C1100 3C000015
	ds_read_b32 v61, v21 offset:4416                           // 000000006E9C: D86C1140 3D000015
	ds_read_b32 v64, v21 offset:6528                           // 000000006EA4: D86C1980 40000015
	ds_read_b32 v65, v21 offset:6592                           // 000000006EAC: D86C19C0 41000015
	ds_read_b32 v68, v21 offset:8704                           // 000000006EB4: D86C2200 44000015
	ds_read_b32 v69, v21 offset:8768                           // 000000006EBC: D86C2240 45000015
	ds_read_b32 v72, v21 offset:10880                          // 000000006EC4: D86C2A80 48000015
	ds_read_b32 v73, v21 offset:10944                          // 000000006ECC: D86C2AC0 49000015
	ds_read_b32 v76, v21 offset:13056                          // 000000006ED4: D86C3300 4C000015
	ds_read_b32 v77, v21 offset:13120                          // 000000006EDC: D86C3340 4D000015
	ds_read_b32 v80, v21 offset:15232                          // 000000006EE4: D86C3B80 50000015
	ds_read_b32 v81, v21 offset:15296                          // 000000006EEC: D86C3BC0 51000015
	ds_read_b32 v84, v21 offset:17408                          // 000000006EF4: D86C4400 54000015
	ds_read_b32 v85, v21 offset:17472                          // 000000006EFC: D86C4440 55000015
	ds_read_b32 v88, v21 offset:19584                          // 000000006F04: D86C4C80 58000015
	ds_read_b32 v89, v21 offset:19648                          // 000000006F0C: D86C4CC0 59000015
	ds_read_b32 v92, v21 offset:21760                          // 000000006F14: D86C5500 5C000015
	ds_read_b32 v93, v21 offset:21824                          // 000000006F1C: D86C5540 5D000015
	ds_read_b32 v96, v21 offset:23936                          // 000000006F24: D86C5D80 60000015
	ds_read_b32 v97, v21 offset:24000                          // 000000006F2C: D86C5DC0 61000015
	s_waitcnt lgkmcnt(0)                                       // 000000006F34: BF8CC07F
	s_mov_b32 s36, -1                                          // 000000006F38: BEA400C1
	s_mov_b32 s37, -1                                          // 000000006F3C: BEA500C1
	v_mov_b32_e32 v7, 0                                        // 000000006F40: 7E0E0280
	s_mov_b64 exec, s[36:37]                                   // 000000006F44: BEFE0124
	v_mov_b32_e32 v6, v42                                      // 000000006F48: 7E0C032A
	s_mov_b64 s[60:61], 0                                      // 000000006F4C: BEBC0180
	v_readlane_b32 s82, v3, 0                                  // 000000006F50: D2890052 00010103
	s_and_b32 s82, s82, 0xffffff                               // 000000006F58: 8652FF52 00FFFFFF
	s_cmp_lt_u32 s82, s66                                      // 000000006F60: BF0A4252
	s_cselect_b32 s20, s36, s60                                // 000000006F64: 85143C24
	v_readlane_b32 s82, v3, 1                                  // 000000006F68: D2890052 00010303
	s_and_b32 s82, s82, 0xffffff                               // 000000006F70: 8652FF52 00FFFFFF
	s_cmp_lt_u32 s82, s66                                      // 000000006F78: BF0A4252
	s_cselect_b32 s21, s36, s60                                // 000000006F7C: 85153C24
	s_mov_b64 exec, s[20:21]                                   // 000000006F80: BEFE0114
	global_atomic_add_f32 v6, v52, s[8:9]                      // 000000006F84: DD348000 00083406
	global_atomic_add_f32 v6, v56, s[8:9] offset:256           // 000000006F8C: DD348100 00083806
	global_atomic_add_f32 v6, v60, s[8:9] offset:512           // 000000006F94: DD348200 00083C06
	global_atomic_add_f32 v6, v64, s[8:9] offset:768           // 000000006F9C: DD348300 00084006
	s_mov_b64 exec, s[36:37]                                   // 000000006FA4: BEFE0124
	v_mov_b32_e32 v6, v43                                      // 000000006FA8: 7E0C032B
	s_mov_b64 s[60:61], 0                                      // 000000006FAC: BEBC0180
	v_readlane_b32 s82, v3, 2                                  // 000000006FB0: D2890052 00010503
	s_and_b32 s82, s82, 0xffffff                               // 000000006FB8: 8652FF52 00FFFFFF
	s_cmp_lt_u32 s82, s66                                      // 000000006FC0: BF0A4252
	s_cselect_b32 s20, s36, s60                                // 000000006FC4: 85143C24
	v_readlane_b32 s82, v3, 3                                  // 000000006FC8: D2890052 00010703
	s_and_b32 s82, s82, 0xffffff                               // 000000006FD0: 8652FF52 00FFFFFF
	s_cmp_lt_u32 s82, s66                                      // 000000006FD8: BF0A4252
	s_cselect_b32 s21, s36, s60                                // 000000006FDC: 85153C24
	s_mov_b64 exec, s[20:21]                                   // 000000006FE0: BEFE0114
	global_atomic_add_f32 v6, v53, s[8:9]                      // 000000006FE4: DD348000 00083506
	global_atomic_add_f32 v6, v57, s[8:9] offset:256           // 000000006FEC: DD348100 00083906
	global_atomic_add_f32 v6, v61, s[8:9] offset:512           // 000000006FF4: DD348200 00083D06
	global_atomic_add_f32 v6, v65, s[8:9] offset:768           // 000000006FFC: DD348300 00084106
	s_mov_b64 exec, s[36:37]                                   // 000000007004: BEFE0124
	v_mov_b32_e32 v6, v44                                      // 000000007008: 7E0C032C
	s_mov_b64 s[60:61], 0                                      // 00000000700C: BEBC0180
	v_readlane_b32 s82, v3, 4                                  // 000000007010: D2890052 00010903
	s_and_b32 s82, s82, 0xffffff                               // 000000007018: 8652FF52 00FFFFFF
	s_cmp_lt_u32 s82, s66                                      // 000000007020: BF0A4252
	s_cselect_b32 s20, s36, s60                                // 000000007024: 85143C24
	v_readlane_b32 s82, v3, 5                                  // 000000007028: D2890052 00010B03
	s_and_b32 s82, s82, 0xffffff                               // 000000007030: 8652FF52 00FFFFFF
	s_cmp_lt_u32 s82, s66                                      // 000000007038: BF0A4252
	s_cselect_b32 s21, s36, s60                                // 00000000703C: 85153C24
	s_mov_b64 exec, s[20:21]                                   // 000000007040: BEFE0114
	global_atomic_add_f32 v6, v68, s[8:9]                      // 000000007044: DD348000 00084406
	global_atomic_add_f32 v6, v72, s[8:9] offset:256           // 00000000704C: DD348100 00084806
	global_atomic_add_f32 v6, v76, s[8:9] offset:512           // 000000007054: DD348200 00084C06
	global_atomic_add_f32 v6, v80, s[8:9] offset:768           // 00000000705C: DD348300 00085006
	s_mov_b64 exec, s[36:37]                                   // 000000007064: BEFE0124
	v_mov_b32_e32 v6, v45                                      // 000000007068: 7E0C032D
	s_mov_b64 s[60:61], 0                                      // 00000000706C: BEBC0180
	v_readlane_b32 s82, v3, 6                                  // 000000007070: D2890052 00010D03
	s_and_b32 s82, s82, 0xffffff                               // 000000007078: 8652FF52 00FFFFFF
	s_cmp_lt_u32 s82, s66                                      // 000000007080: BF0A4252
	s_cselect_b32 s20, s36, s60                                // 000000007084: 85143C24
	v_readlane_b32 s82, v3, 7                                  // 000000007088: D2890052 00010F03
	s_and_b32 s82, s82, 0xffffff                               // 000000007090: 8652FF52 00FFFFFF
	s_cmp_lt_u32 s82, s66                                      // 000000007098: BF0A4252
	s_cselect_b32 s21, s36, s60                                // 00000000709C: 85153C24
	s_mov_b64 exec, s[20:21]                                   // 0000000070A0: BEFE0114
	global_atomic_add_f32 v6, v69, s[8:9]                      // 0000000070A4: DD348000 00084506
	global_atomic_add_f32 v6, v73, s[8:9] offset:256           // 0000000070AC: DD348100 00084906
	global_atomic_add_f32 v6, v77, s[8:9] offset:512           // 0000000070B4: DD348200 00084D06
	global_atomic_add_f32 v6, v81, s[8:9] offset:768           // 0000000070BC: DD348300 00085106
	s_mov_b64 exec, s[36:37]                                   // 0000000070C4: BEFE0124
	v_mov_b32_e32 v6, v46                                      // 0000000070C8: 7E0C032E
	s_mov_b64 s[60:61], 0                                      // 0000000070CC: BEBC0180
	v_readlane_b32 s82, v3, 8                                  // 0000000070D0: D2890052 00011103
	s_and_b32 s82, s82, 0xffffff                               // 0000000070D8: 8652FF52 00FFFFFF
	s_cmp_lt_u32 s82, s66                                      // 0000000070E0: BF0A4252
	s_cselect_b32 s20, s36, s60                                // 0000000070E4: 85143C24
	v_readlane_b32 s82, v3, 9                                  // 0000000070E8: D2890052 00011303
	s_and_b32 s82, s82, 0xffffff                               // 0000000070F0: 8652FF52 00FFFFFF
	s_cmp_lt_u32 s82, s66                                      // 0000000070F8: BF0A4252
	s_cselect_b32 s21, s36, s60                                // 0000000070FC: 85153C24
	s_mov_b64 exec, s[20:21]                                   // 000000007100: BEFE0114
	global_atomic_add_f32 v6, v84, s[8:9]                      // 000000007104: DD348000 00085406
	global_atomic_add_f32 v6, v88, s[8:9] offset:256           // 00000000710C: DD348100 00085806
	global_atomic_add_f32 v6, v92, s[8:9] offset:512           // 000000007114: DD348200 00085C06
	global_atomic_add_f32 v6, v96, s[8:9] offset:768           // 00000000711C: DD348300 00086006
	s_mov_b64 exec, s[36:37]                                   // 000000007124: BEFE0124
	v_mov_b32_e32 v6, v47                                      // 000000007128: 7E0C032F
	s_mov_b64 s[60:61], 0                                      // 00000000712C: BEBC0180
	v_readlane_b32 s82, v3, 10                                 // 000000007130: D2890052 00011503
	s_and_b32 s82, s82, 0xffffff                               // 000000007138: 8652FF52 00FFFFFF
	s_cmp_lt_u32 s82, s66                                      // 000000007140: BF0A4252
	s_cselect_b32 s20, s36, s60                                // 000000007144: 85143C24
	v_readlane_b32 s82, v3, 11                                 // 000000007148: D2890052 00011703
	s_and_b32 s82, s82, 0xffffff                               // 000000007150: 8652FF52 00FFFFFF
	s_cmp_lt_u32 s82, s66                                      // 000000007158: BF0A4252
	s_cselect_b32 s21, s36, s60                                // 00000000715C: 85153C24
	s_mov_b64 exec, s[20:21]                                   // 000000007160: BEFE0114
	global_atomic_add_f32 v6, v85, s[8:9]                      // 000000007164: DD348000 00085506
	global_atomic_add_f32 v6, v89, s[8:9] offset:256           // 00000000716C: DD348100 00085906
	global_atomic_add_f32 v6, v93, s[8:9] offset:512           // 000000007174: DD348200 00085D06
	global_atomic_add_f32 v6, v97, s[8:9] offset:768           // 00000000717C: DD348300 00086106
	s_mov_b64 exec, s[36:37]                                   // 000000007184: BEFE0124
	ds_write_b64 v20, v[54:55]                                 // 000000007188: D89A0000 00003614
	ds_write_b64 v20, v[58:59] offset:8704                     // 000000007190: D89A2200 00003A14
	ds_write_b64 v20, v[62:63] offset:17408                    // 000000007198: D89A4400 00003E14
	ds_write_b64 v20, v[66:67] offset:2176                     // 0000000071A0: D89A0880 00004214
	ds_write_b64 v20, v[70:71] offset:10880                    // 0000000071A8: D89A2A80 00004614
	ds_write_b64 v20, v[74:75] offset:19584                    // 0000000071B0: D89A4C80 00004A14
	ds_write_b64 v20, v[78:79] offset:4352                     // 0000000071B8: D89A1100 00004E14
	ds_write_b64 v20, v[82:83] offset:13056                    // 0000000071C0: D89A3300 00005214
	ds_write_b64 v20, v[86:87] offset:21760                    // 0000000071C8: D89A5500 00005614
	ds_write_b64 v20, v[90:91] offset:6528                     // 0000000071D0: D89A1980 00005A14
	ds_write_b64 v20, v[94:95] offset:15232                    // 0000000071D8: D89A3B80 00005E14
	ds_write_b64 v20, v[98:99] offset:23936                    // 0000000071E0: D89A5D80 00006214
	s_waitcnt lgkmcnt(0)                                       // 0000000071E8: BF8CC07F
	s_barrier                                                  // 0000000071EC: BF8A0000
	ds_read_b32 v54, v21                                       // 0000000071F0: D86C0000 36000015
	ds_read_b32 v55, v21 offset:64                             // 0000000071F8: D86C0040 37000015
	ds_read_b32 v58, v21 offset:2176                           // 000000007200: D86C0880 3A000015
	ds_read_b32 v59, v21 offset:2240                           // 000000007208: D86C08C0 3B000015
	ds_read_b32 v62, v21 offset:4352                           // 000000007210: D86C1100 3E000015
	ds_read_b32 v63, v21 offset:4416                           // 000000007218: D86C1140 3F000015
	ds_read_b32 v66, v21 offset:6528                           // 000000007220: D86C1980 42000015
	ds_read_b32 v67, v21 offset:6592                           // 000000007228: D86C19C0 43000015
	ds_read_b32 v70, v21 offset:8704                           // 000000007230: D86C2200 46000015
	ds_read_b32 v71, v21 offset:8768                           // 000000007238: D86C2240 47000015
	ds_read_b32 v74, v21 offset:10880                          // 000000007240: D86C2A80 4A000015
	ds_read_b32 v75, v21 offset:10944                          // 000000007248: D86C2AC0 4B000015
	ds_read_b32 v78, v21 offset:13056                          // 000000007250: D86C3300 4E000015
	ds_read_b32 v79, v21 offset:13120                          // 000000007258: D86C3340 4F000015
	ds_read_b32 v82, v21 offset:15232                          // 000000007260: D86C3B80 52000015
	ds_read_b32 v83, v21 offset:15296                          // 000000007268: D86C3BC0 53000015
	ds_read_b32 v86, v21 offset:17408                          // 000000007270: D86C4400 56000015
	ds_read_b32 v87, v21 offset:17472                          // 000000007278: D86C4440 57000015
	ds_read_b32 v90, v21 offset:19584                          // 000000007280: D86C4C80 5A000015
	ds_read_b32 v91, v21 offset:19648                          // 000000007288: D86C4CC0 5B000015
	ds_read_b32 v94, v21 offset:21760                          // 000000007290: D86C5500 5E000015
	ds_read_b32 v95, v21 offset:21824                          // 000000007298: D86C5540 5F000015
	ds_read_b32 v98, v21 offset:23936                          // 0000000072A0: D86C5D80 62000015
	ds_read_b32 v99, v21 offset:24000                          // 0000000072A8: D86C5DC0 63000015
	s_waitcnt lgkmcnt(0)                                       // 0000000072B0: BF8CC07F
	v_mov_b32_e32 v7, 0                                        // 0000000072B4: 7E0E0280
	s_mov_b64 exec, s[36:37]                                   // 0000000072B8: BEFE0124
	v_mov_b32_e32 v6, v42                                      // 0000000072BC: 7E0C032A
	s_mov_b64 s[60:61], 0                                      // 0000000072C0: BEBC0180
	v_readlane_b32 s82, v3, 0                                  // 0000000072C4: D2890052 00010103
	s_and_b32 s82, s82, 0xffffff                               // 0000000072CC: 8652FF52 00FFFFFF
	s_cmp_lt_u32 s82, s66                                      // 0000000072D4: BF0A4252
	s_cselect_b32 s20, s36, s60                                // 0000000072D8: 85143C24
	v_readlane_b32 s82, v3, 1                                  // 0000000072DC: D2890052 00010303
	s_and_b32 s82, s82, 0xffffff                               // 0000000072E4: 8652FF52 00FFFFFF
	s_cmp_lt_u32 s82, s66                                      // 0000000072EC: BF0A4252
	s_cselect_b32 s21, s36, s60                                // 0000000072F0: 85153C24
	s_mov_b64 exec, s[20:21]                                   // 0000000072F4: BEFE0114
	global_atomic_add_f32 v6, v54, s[8:9] offset:8             // 0000000072F8: DD348008 00083606
	global_atomic_add_f32 v6, v58, s[8:9] offset:264           // 000000007300: DD348108 00083A06
	global_atomic_add_f32 v6, v62, s[8:9] offset:520           // 000000007308: DD348208 00083E06
	global_atomic_add_f32 v6, v66, s[8:9] offset:776           // 000000007310: DD348308 00084206
	s_mov_b64 exec, s[36:37]                                   // 000000007318: BEFE0124
	v_mov_b32_e32 v6, v43                                      // 00000000731C: 7E0C032B
	s_mov_b64 s[60:61], 0                                      // 000000007320: BEBC0180
	v_readlane_b32 s82, v3, 2                                  // 000000007324: D2890052 00010503
	s_and_b32 s82, s82, 0xffffff                               // 00000000732C: 8652FF52 00FFFFFF
	s_cmp_lt_u32 s82, s66                                      // 000000007334: BF0A4252
	s_cselect_b32 s20, s36, s60                                // 000000007338: 85143C24
	v_readlane_b32 s82, v3, 3                                  // 00000000733C: D2890052 00010703
	s_and_b32 s82, s82, 0xffffff                               // 000000007344: 8652FF52 00FFFFFF
	s_cmp_lt_u32 s82, s66                                      // 00000000734C: BF0A4252
	s_cselect_b32 s21, s36, s60                                // 000000007350: 85153C24
	s_mov_b64 exec, s[20:21]                                   // 000000007354: BEFE0114
	global_atomic_add_f32 v6, v55, s[8:9] offset:8             // 000000007358: DD348008 00083706
	global_atomic_add_f32 v6, v59, s[8:9] offset:264           // 000000007360: DD348108 00083B06
	global_atomic_add_f32 v6, v63, s[8:9] offset:520           // 000000007368: DD348208 00083F06
	global_atomic_add_f32 v6, v67, s[8:9] offset:776           // 000000007370: DD348308 00084306
	s_mov_b64 exec, s[36:37]                                   // 000000007378: BEFE0124
	v_mov_b32_e32 v6, v44                                      // 00000000737C: 7E0C032C
	s_mov_b64 s[60:61], 0                                      // 000000007380: BEBC0180
	v_readlane_b32 s82, v3, 4                                  // 000000007384: D2890052 00010903
	s_and_b32 s82, s82, 0xffffff                               // 00000000738C: 8652FF52 00FFFFFF
	s_cmp_lt_u32 s82, s66                                      // 000000007394: BF0A4252
	s_cselect_b32 s20, s36, s60                                // 000000007398: 85143C24
	v_readlane_b32 s82, v3, 5                                  // 00000000739C: D2890052 00010B03
	s_and_b32 s82, s82, 0xffffff                               // 0000000073A4: 8652FF52 00FFFFFF
	s_cmp_lt_u32 s82, s66                                      // 0000000073AC: BF0A4252
	s_cselect_b32 s21, s36, s60                                // 0000000073B0: 85153C24
	s_mov_b64 exec, s[20:21]                                   // 0000000073B4: BEFE0114
	global_atomic_add_f32 v6, v70, s[8:9] offset:8             // 0000000073B8: DD348008 00084606
	global_atomic_add_f32 v6, v74, s[8:9] offset:264           // 0000000073C0: DD348108 00084A06
	global_atomic_add_f32 v6, v78, s[8:9] offset:520           // 0000000073C8: DD348208 00084E06
	global_atomic_add_f32 v6, v82, s[8:9] offset:776           // 0000000073D0: DD348308 00085206
	s_mov_b64 exec, s[36:37]                                   // 0000000073D8: BEFE0124
	v_mov_b32_e32 v6, v45                                      // 0000000073DC: 7E0C032D
	s_mov_b64 s[60:61], 0                                      // 0000000073E0: BEBC0180
	v_readlane_b32 s82, v3, 6                                  // 0000000073E4: D2890052 00010D03
	s_and_b32 s82, s82, 0xffffff                               // 0000000073EC: 8652FF52 00FFFFFF
	s_cmp_lt_u32 s82, s66                                      // 0000000073F4: BF0A4252
	s_cselect_b32 s20, s36, s60                                // 0000000073F8: 85143C24
	v_readlane_b32 s82, v3, 7                                  // 0000000073FC: D2890052 00010F03
	s_and_b32 s82, s82, 0xffffff                               // 000000007404: 8652FF52 00FFFFFF
	s_cmp_lt_u32 s82, s66                                      // 00000000740C: BF0A4252
	s_cselect_b32 s21, s36, s60                                // 000000007410: 85153C24
	s_mov_b64 exec, s[20:21]                                   // 000000007414: BEFE0114
	global_atomic_add_f32 v6, v71, s[8:9] offset:8             // 000000007418: DD348008 00084706
	global_atomic_add_f32 v6, v75, s[8:9] offset:264           // 000000007420: DD348108 00084B06
	global_atomic_add_f32 v6, v79, s[8:9] offset:520           // 000000007428: DD348208 00084F06
	global_atomic_add_f32 v6, v83, s[8:9] offset:776           // 000000007430: DD348308 00085306
	s_mov_b64 exec, s[36:37]                                   // 000000007438: BEFE0124
	v_mov_b32_e32 v6, v46                                      // 00000000743C: 7E0C032E
	s_mov_b64 s[60:61], 0                                      // 000000007440: BEBC0180
	v_readlane_b32 s82, v3, 8                                  // 000000007444: D2890052 00011103
	s_and_b32 s82, s82, 0xffffff                               // 00000000744C: 8652FF52 00FFFFFF
	s_cmp_lt_u32 s82, s66                                      // 000000007454: BF0A4252
	s_cselect_b32 s20, s36, s60                                // 000000007458: 85143C24
	v_readlane_b32 s82, v3, 9                                  // 00000000745C: D2890052 00011303
	s_and_b32 s82, s82, 0xffffff                               // 000000007464: 8652FF52 00FFFFFF
	s_cmp_lt_u32 s82, s66                                      // 00000000746C: BF0A4252
	s_cselect_b32 s21, s36, s60                                // 000000007470: 85153C24
	s_mov_b64 exec, s[20:21]                                   // 000000007474: BEFE0114
	global_atomic_add_f32 v6, v86, s[8:9] offset:8             // 000000007478: DD348008 00085606
	global_atomic_add_f32 v6, v90, s[8:9] offset:264           // 000000007480: DD348108 00085A06
	global_atomic_add_f32 v6, v94, s[8:9] offset:520           // 000000007488: DD348208 00085E06
	global_atomic_add_f32 v6, v98, s[8:9] offset:776           // 000000007490: DD348308 00086206
	s_mov_b64 exec, s[36:37]                                   // 000000007498: BEFE0124
	v_mov_b32_e32 v6, v47                                      // 00000000749C: 7E0C032F
	s_mov_b64 s[60:61], 0                                      // 0000000074A0: BEBC0180
	v_readlane_b32 s82, v3, 10                                 // 0000000074A4: D2890052 00011503
	s_and_b32 s82, s82, 0xffffff                               // 0000000074AC: 8652FF52 00FFFFFF
	s_cmp_lt_u32 s82, s66                                      // 0000000074B4: BF0A4252
	s_cselect_b32 s20, s36, s60                                // 0000000074B8: 85143C24
	v_readlane_b32 s82, v3, 11                                 // 0000000074BC: D2890052 00011703
	s_and_b32 s82, s82, 0xffffff                               // 0000000074C4: 8652FF52 00FFFFFF
	s_cmp_lt_u32 s82, s66                                      // 0000000074CC: BF0A4252
	s_cselect_b32 s21, s36, s60                                // 0000000074D0: 85153C24
	s_mov_b64 exec, s[20:21]                                   // 0000000074D4: BEFE0114
	global_atomic_add_f32 v6, v87, s[8:9] offset:8             // 0000000074D8: DD348008 00085706
	global_atomic_add_f32 v6, v91, s[8:9] offset:264           // 0000000074E0: DD348108 00085B06
	global_atomic_add_f32 v6, v95, s[8:9] offset:520           // 0000000074E8: DD348208 00085F06
	global_atomic_add_f32 v6, v99, s[8:9] offset:776           // 0000000074F0: DD348308 00086306
	s_mov_b64 exec, s[36:37]                                   // 0000000074F8: BEFE0124
	ds_write_b64 v20, v[100:101]                               // 0000000074FC: D89A0000 00006414
	ds_write_b64 v20, v[104:105] offset:8704                   // 000000007504: D89A2200 00006814
	ds_write_b64 v20, v[108:109] offset:17408                  // 00000000750C: D89A4400 00006C14
	ds_write_b64 v20, v[112:113] offset:2176                   // 000000007514: D89A0880 00007014
	ds_write_b64 v20, v[116:117] offset:10880                  // 00000000751C: D89A2A80 00007414
	ds_write_b64 v20, v[120:121] offset:19584                  // 000000007524: D89A4C80 00007814
	ds_write_b64 v20, v[124:125] offset:4352                   // 00000000752C: D89A1100 00007C14
	ds_write_b64 v20, v[128:129] offset:13056                  // 000000007534: D89A3300 00008014
	ds_write_b64 v20, v[132:133] offset:21760                  // 00000000753C: D89A5500 00008414
	ds_write_b64 v20, v[136:137] offset:6528                   // 000000007544: D89A1980 00008814
	ds_write_b64 v20, v[140:141] offset:15232                  // 00000000754C: D89A3B80 00008C14
	ds_write_b64 v20, v[144:145] offset:23936                  // 000000007554: D89A5D80 00009014
	s_waitcnt lgkmcnt(0)                                       // 00000000755C: BF8CC07F
	s_barrier                                                  // 000000007560: BF8A0000
	ds_read_b32 v100, v21                                      // 000000007564: D86C0000 64000015
	ds_read_b32 v101, v21 offset:64                            // 00000000756C: D86C0040 65000015
	ds_read_b32 v104, v21 offset:2176                          // 000000007574: D86C0880 68000015
	ds_read_b32 v105, v21 offset:2240                          // 00000000757C: D86C08C0 69000015
	ds_read_b32 v108, v21 offset:4352                          // 000000007584: D86C1100 6C000015
	ds_read_b32 v109, v21 offset:4416                          // 00000000758C: D86C1140 6D000015
	ds_read_b32 v112, v21 offset:6528                          // 000000007594: D86C1980 70000015
	ds_read_b32 v113, v21 offset:6592                          // 00000000759C: D86C19C0 71000015
	ds_read_b32 v116, v21 offset:8704                          // 0000000075A4: D86C2200 74000015
	ds_read_b32 v117, v21 offset:8768                          // 0000000075AC: D86C2240 75000015
	ds_read_b32 v120, v21 offset:10880                         // 0000000075B4: D86C2A80 78000015
	ds_read_b32 v121, v21 offset:10944                         // 0000000075BC: D86C2AC0 79000015
	ds_read_b32 v124, v21 offset:13056                         // 0000000075C4: D86C3300 7C000015
	ds_read_b32 v125, v21 offset:13120                         // 0000000075CC: D86C3340 7D000015
	ds_read_b32 v128, v21 offset:15232                         // 0000000075D4: D86C3B80 80000015
	ds_read_b32 v129, v21 offset:15296                         // 0000000075DC: D86C3BC0 81000015
	ds_read_b32 v132, v21 offset:17408                         // 0000000075E4: D86C4400 84000015
	ds_read_b32 v133, v21 offset:17472                         // 0000000075EC: D86C4440 85000015
	ds_read_b32 v136, v21 offset:19584                         // 0000000075F4: D86C4C80 88000015
	ds_read_b32 v137, v21 offset:19648                         // 0000000075FC: D86C4CC0 89000015
	ds_read_b32 v140, v21 offset:21760                         // 000000007604: D86C5500 8C000015
	ds_read_b32 v141, v21 offset:21824                         // 00000000760C: D86C5540 8D000015
	ds_read_b32 v144, v21 offset:23936                         // 000000007614: D86C5D80 90000015
	ds_read_b32 v145, v21 offset:24000                         // 00000000761C: D86C5DC0 91000015
	s_mul_i32 s60, s65, 4                                      // 000000007624: 923C8441
	s_add_u32 s8, s60, s8                                      // 000000007628: 8008083C
	s_addc_u32 s9, 0, s9                                       // 00000000762C: 82090980
	s_waitcnt lgkmcnt(0)                                       // 000000007630: BF8CC07F
	v_mov_b32_e32 v7, 0                                        // 000000007634: 7E0E0280
	s_mov_b64 exec, s[36:37]                                   // 000000007638: BEFE0124
	v_mov_b32_e32 v6, v42                                      // 00000000763C: 7E0C032A
	s_mov_b64 s[60:61], 0                                      // 000000007640: BEBC0180
	v_readlane_b32 s82, v3, 0                                  // 000000007644: D2890052 00010103
	s_and_b32 s82, s82, 0xffffff                               // 00000000764C: 8652FF52 00FFFFFF
	s_cmp_lt_u32 s82, s66                                      // 000000007654: BF0A4252
	s_cselect_b32 s20, s36, s60                                // 000000007658: 85143C24
	v_readlane_b32 s82, v3, 1                                  // 00000000765C: D2890052 00010303
	s_and_b32 s82, s82, 0xffffff                               // 000000007664: 8652FF52 00FFFFFF
	s_cmp_lt_u32 s82, s66                                      // 00000000766C: BF0A4252
	s_cselect_b32 s21, s36, s60                                // 000000007670: 85153C24
	s_mov_b64 exec, s[20:21]                                   // 000000007674: BEFE0114
	global_atomic_add_f32 v6, v100, s[8:9]                     // 000000007678: DD348000 00086406
	global_atomic_add_f32 v6, v104, s[8:9] offset:256          // 000000007680: DD348100 00086806
	global_atomic_add_f32 v6, v108, s[8:9] offset:512          // 000000007688: DD348200 00086C06
	global_atomic_add_f32 v6, v112, s[8:9] offset:768          // 000000007690: DD348300 00087006
	s_mov_b64 exec, s[36:37]                                   // 000000007698: BEFE0124
	v_mov_b32_e32 v6, v43                                      // 00000000769C: 7E0C032B
	s_mov_b64 s[60:61], 0                                      // 0000000076A0: BEBC0180
	v_readlane_b32 s82, v3, 2                                  // 0000000076A4: D2890052 00010503
	s_and_b32 s82, s82, 0xffffff                               // 0000000076AC: 8652FF52 00FFFFFF
	s_cmp_lt_u32 s82, s66                                      // 0000000076B4: BF0A4252
	s_cselect_b32 s20, s36, s60                                // 0000000076B8: 85143C24
	v_readlane_b32 s82, v3, 3                                  // 0000000076BC: D2890052 00010703
	s_and_b32 s82, s82, 0xffffff                               // 0000000076C4: 8652FF52 00FFFFFF
	s_cmp_lt_u32 s82, s66                                      // 0000000076CC: BF0A4252
	s_cselect_b32 s21, s36, s60                                // 0000000076D0: 85153C24
	s_mov_b64 exec, s[20:21]                                   // 0000000076D4: BEFE0114
	global_atomic_add_f32 v6, v101, s[8:9]                     // 0000000076D8: DD348000 00086506
	global_atomic_add_f32 v6, v105, s[8:9] offset:256          // 0000000076E0: DD348100 00086906
	global_atomic_add_f32 v6, v109, s[8:9] offset:512          // 0000000076E8: DD348200 00086D06
	global_atomic_add_f32 v6, v113, s[8:9] offset:768          // 0000000076F0: DD348300 00087106
	s_mov_b64 exec, s[36:37]                                   // 0000000076F8: BEFE0124
	v_mov_b32_e32 v6, v44                                      // 0000000076FC: 7E0C032C
	s_mov_b64 s[60:61], 0                                      // 000000007700: BEBC0180
	v_readlane_b32 s82, v3, 4                                  // 000000007704: D2890052 00010903
	s_and_b32 s82, s82, 0xffffff                               // 00000000770C: 8652FF52 00FFFFFF
	s_cmp_lt_u32 s82, s66                                      // 000000007714: BF0A4252
	s_cselect_b32 s20, s36, s60                                // 000000007718: 85143C24
	v_readlane_b32 s82, v3, 5                                  // 00000000771C: D2890052 00010B03
	s_and_b32 s82, s82, 0xffffff                               // 000000007724: 8652FF52 00FFFFFF
	s_cmp_lt_u32 s82, s66                                      // 00000000772C: BF0A4252
	s_cselect_b32 s21, s36, s60                                // 000000007730: 85153C24
	s_mov_b64 exec, s[20:21]                                   // 000000007734: BEFE0114
	global_atomic_add_f32 v6, v116, s[8:9]                     // 000000007738: DD348000 00087406
	global_atomic_add_f32 v6, v120, s[8:9] offset:256          // 000000007740: DD348100 00087806
	global_atomic_add_f32 v6, v124, s[8:9] offset:512          // 000000007748: DD348200 00087C06
	global_atomic_add_f32 v6, v128, s[8:9] offset:768          // 000000007750: DD348300 00088006
	s_mov_b64 exec, s[36:37]                                   // 000000007758: BEFE0124
	v_mov_b32_e32 v6, v45                                      // 00000000775C: 7E0C032D
	s_mov_b64 s[60:61], 0                                      // 000000007760: BEBC0180
	v_readlane_b32 s82, v3, 6                                  // 000000007764: D2890052 00010D03
	s_and_b32 s82, s82, 0xffffff                               // 00000000776C: 8652FF52 00FFFFFF
	s_cmp_lt_u32 s82, s66                                      // 000000007774: BF0A4252
	s_cselect_b32 s20, s36, s60                                // 000000007778: 85143C24
	v_readlane_b32 s82, v3, 7                                  // 00000000777C: D2890052 00010F03
	s_and_b32 s82, s82, 0xffffff                               // 000000007784: 8652FF52 00FFFFFF
	s_cmp_lt_u32 s82, s66                                      // 00000000778C: BF0A4252
	s_cselect_b32 s21, s36, s60                                // 000000007790: 85153C24
	s_mov_b64 exec, s[20:21]                                   // 000000007794: BEFE0114
	global_atomic_add_f32 v6, v117, s[8:9]                     // 000000007798: DD348000 00087506
	global_atomic_add_f32 v6, v121, s[8:9] offset:256          // 0000000077A0: DD348100 00087906
	global_atomic_add_f32 v6, v125, s[8:9] offset:512          // 0000000077A8: DD348200 00087D06
	global_atomic_add_f32 v6, v129, s[8:9] offset:768          // 0000000077B0: DD348300 00088106
	s_mov_b64 exec, s[36:37]                                   // 0000000077B8: BEFE0124
	v_mov_b32_e32 v6, v46                                      // 0000000077BC: 7E0C032E
	s_mov_b64 s[60:61], 0                                      // 0000000077C0: BEBC0180
	v_readlane_b32 s82, v3, 8                                  // 0000000077C4: D2890052 00011103
	s_and_b32 s82, s82, 0xffffff                               // 0000000077CC: 8652FF52 00FFFFFF
	s_cmp_lt_u32 s82, s66                                      // 0000000077D4: BF0A4252
	s_cselect_b32 s20, s36, s60                                // 0000000077D8: 85143C24
	v_readlane_b32 s82, v3, 9                                  // 0000000077DC: D2890052 00011303
	s_and_b32 s82, s82, 0xffffff                               // 0000000077E4: 8652FF52 00FFFFFF
	s_cmp_lt_u32 s82, s66                                      // 0000000077EC: BF0A4252
	s_cselect_b32 s21, s36, s60                                // 0000000077F0: 85153C24
	s_mov_b64 exec, s[20:21]                                   // 0000000077F4: BEFE0114
	global_atomic_add_f32 v6, v132, s[8:9]                     // 0000000077F8: DD348000 00088406
	global_atomic_add_f32 v6, v136, s[8:9] offset:256          // 000000007800: DD348100 00088806
	global_atomic_add_f32 v6, v140, s[8:9] offset:512          // 000000007808: DD348200 00088C06
	global_atomic_add_f32 v6, v144, s[8:9] offset:768          // 000000007810: DD348300 00089006
	s_mov_b64 exec, s[36:37]                                   // 000000007818: BEFE0124
	v_mov_b32_e32 v6, v47                                      // 00000000781C: 7E0C032F
	s_mov_b64 s[60:61], 0                                      // 000000007820: BEBC0180
	v_readlane_b32 s82, v3, 10                                 // 000000007824: D2890052 00011503
	s_and_b32 s82, s82, 0xffffff                               // 00000000782C: 8652FF52 00FFFFFF
	s_cmp_lt_u32 s82, s66                                      // 000000007834: BF0A4252
	s_cselect_b32 s20, s36, s60                                // 000000007838: 85143C24
	v_readlane_b32 s82, v3, 11                                 // 00000000783C: D2890052 00011703
	s_and_b32 s82, s82, 0xffffff                               // 000000007844: 8652FF52 00FFFFFF
	s_cmp_lt_u32 s82, s66                                      // 00000000784C: BF0A4252
	s_cselect_b32 s21, s36, s60                                // 000000007850: 85153C24
	s_mov_b64 exec, s[20:21]                                   // 000000007854: BEFE0114
	global_atomic_add_f32 v6, v133, s[8:9]                     // 000000007858: DD348000 00088506
	global_atomic_add_f32 v6, v137, s[8:9] offset:256          // 000000007860: DD348100 00088906
	global_atomic_add_f32 v6, v141, s[8:9] offset:512          // 000000007868: DD348200 00088D06
	global_atomic_add_f32 v6, v145, s[8:9] offset:768          // 000000007870: DD348300 00089106
	s_mov_b64 exec, s[36:37]                                   // 000000007878: BEFE0124
	ds_write_b64 v20, v[102:103]                               // 00000000787C: D89A0000 00006614
	ds_write_b64 v20, v[106:107] offset:8704                   // 000000007884: D89A2200 00006A14
	ds_write_b64 v20, v[110:111] offset:17408                  // 00000000788C: D89A4400 00006E14
	ds_write_b64 v20, v[114:115] offset:2176                   // 000000007894: D89A0880 00007214
	ds_write_b64 v20, v[118:119] offset:10880                  // 00000000789C: D89A2A80 00007614
	ds_write_b64 v20, v[122:123] offset:19584                  // 0000000078A4: D89A4C80 00007A14
	ds_write_b64 v20, v[126:127] offset:4352                   // 0000000078AC: D89A1100 00007E14
	ds_write_b64 v20, v[130:131] offset:13056                  // 0000000078B4: D89A3300 00008214
	ds_write_b64 v20, v[134:135] offset:21760                  // 0000000078BC: D89A5500 00008614
	ds_write_b64 v20, v[138:139] offset:6528                   // 0000000078C4: D89A1980 00008A14
	ds_write_b64 v20, v[142:143] offset:15232                  // 0000000078CC: D89A3B80 00008E14
	ds_write_b64 v20, v[146:147] offset:23936                  // 0000000078D4: D89A5D80 00009214
	s_waitcnt lgkmcnt(0)                                       // 0000000078DC: BF8CC07F
	s_barrier                                                  // 0000000078E0: BF8A0000
	ds_read_b32 v102, v21                                      // 0000000078E4: D86C0000 66000015
	ds_read_b32 v103, v21 offset:64                            // 0000000078EC: D86C0040 67000015
	ds_read_b32 v106, v21 offset:2176                          // 0000000078F4: D86C0880 6A000015
	ds_read_b32 v107, v21 offset:2240                          // 0000000078FC: D86C08C0 6B000015
	ds_read_b32 v110, v21 offset:4352                          // 000000007904: D86C1100 6E000015
	ds_read_b32 v111, v21 offset:4416                          // 00000000790C: D86C1140 6F000015
	ds_read_b32 v114, v21 offset:6528                          // 000000007914: D86C1980 72000015
	ds_read_b32 v115, v21 offset:6592                          // 00000000791C: D86C19C0 73000015
	ds_read_b32 v118, v21 offset:8704                          // 000000007924: D86C2200 76000015
	ds_read_b32 v119, v21 offset:8768                          // 00000000792C: D86C2240 77000015
	ds_read_b32 v122, v21 offset:10880                         // 000000007934: D86C2A80 7A000015
	ds_read_b32 v123, v21 offset:10944                         // 00000000793C: D86C2AC0 7B000015
	ds_read_b32 v126, v21 offset:13056                         // 000000007944: D86C3300 7E000015
	ds_read_b32 v127, v21 offset:13120                         // 00000000794C: D86C3340 7F000015
	ds_read_b32 v130, v21 offset:15232                         // 000000007954: D86C3B80 82000015
	ds_read_b32 v131, v21 offset:15296                         // 00000000795C: D86C3BC0 83000015
	ds_read_b32 v134, v21 offset:17408                         // 000000007964: D86C4400 86000015
	ds_read_b32 v135, v21 offset:17472                         // 00000000796C: D86C4440 87000015
	ds_read_b32 v138, v21 offset:19584                         // 000000007974: D86C4C80 8A000015
	ds_read_b32 v139, v21 offset:19648                         // 00000000797C: D86C4CC0 8B000015
	ds_read_b32 v142, v21 offset:21760                         // 000000007984: D86C5500 8E000015
	ds_read_b32 v143, v21 offset:21824                         // 00000000798C: D86C5540 8F000015
	ds_read_b32 v146, v21 offset:23936                         // 000000007994: D86C5D80 92000015
	ds_read_b32 v147, v21 offset:24000                         // 00000000799C: D86C5DC0 93000015
	s_waitcnt lgkmcnt(0)                                       // 0000000079A4: BF8CC07F
	v_mov_b32_e32 v7, 0                                        // 0000000079A8: 7E0E0280
	s_mov_b64 exec, s[36:37]                                   // 0000000079AC: BEFE0124
	v_mov_b32_e32 v6, v42                                      // 0000000079B0: 7E0C032A
	s_mov_b64 s[60:61], 0                                      // 0000000079B4: BEBC0180
	v_readlane_b32 s82, v3, 0                                  // 0000000079B8: D2890052 00010103
	s_and_b32 s82, s82, 0xffffff                               // 0000000079C0: 8652FF52 00FFFFFF
	s_cmp_lt_u32 s82, s66                                      // 0000000079C8: BF0A4252
	s_cselect_b32 s20, s36, s60                                // 0000000079CC: 85143C24
	v_readlane_b32 s82, v3, 1                                  // 0000000079D0: D2890052 00010303
	s_and_b32 s82, s82, 0xffffff                               // 0000000079D8: 8652FF52 00FFFFFF
	s_cmp_lt_u32 s82, s66                                      // 0000000079E0: BF0A4252
	s_cselect_b32 s21, s36, s60                                // 0000000079E4: 85153C24
	s_mov_b64 exec, s[20:21]                                   // 0000000079E8: BEFE0114
	global_atomic_add_f32 v6, v102, s[8:9] offset:8            // 0000000079EC: DD348008 00086606
	global_atomic_add_f32 v6, v106, s[8:9] offset:264          // 0000000079F4: DD348108 00086A06
	global_atomic_add_f32 v6, v110, s[8:9] offset:520          // 0000000079FC: DD348208 00086E06
	global_atomic_add_f32 v6, v114, s[8:9] offset:776          // 000000007A04: DD348308 00087206
	s_mov_b64 exec, s[36:37]                                   // 000000007A0C: BEFE0124
	v_mov_b32_e32 v6, v43                                      // 000000007A10: 7E0C032B
	s_mov_b64 s[60:61], 0                                      // 000000007A14: BEBC0180
	v_readlane_b32 s82, v3, 2                                  // 000000007A18: D2890052 00010503
	s_and_b32 s82, s82, 0xffffff                               // 000000007A20: 8652FF52 00FFFFFF
	s_cmp_lt_u32 s82, s66                                      // 000000007A28: BF0A4252
	s_cselect_b32 s20, s36, s60                                // 000000007A2C: 85143C24
	v_readlane_b32 s82, v3, 3                                  // 000000007A30: D2890052 00010703
	s_and_b32 s82, s82, 0xffffff                               // 000000007A38: 8652FF52 00FFFFFF
	s_cmp_lt_u32 s82, s66                                      // 000000007A40: BF0A4252
	s_cselect_b32 s21, s36, s60                                // 000000007A44: 85153C24
	s_mov_b64 exec, s[20:21]                                   // 000000007A48: BEFE0114
	global_atomic_add_f32 v6, v103, s[8:9] offset:8            // 000000007A4C: DD348008 00086706
	global_atomic_add_f32 v6, v107, s[8:9] offset:264          // 000000007A54: DD348108 00086B06
	global_atomic_add_f32 v6, v111, s[8:9] offset:520          // 000000007A5C: DD348208 00086F06
	global_atomic_add_f32 v6, v115, s[8:9] offset:776          // 000000007A64: DD348308 00087306
	s_mov_b64 exec, s[36:37]                                   // 000000007A6C: BEFE0124
	v_mov_b32_e32 v6, v44                                      // 000000007A70: 7E0C032C
	s_mov_b64 s[60:61], 0                                      // 000000007A74: BEBC0180
	v_readlane_b32 s82, v3, 4                                  // 000000007A78: D2890052 00010903
	s_and_b32 s82, s82, 0xffffff                               // 000000007A80: 8652FF52 00FFFFFF
	s_cmp_lt_u32 s82, s66                                      // 000000007A88: BF0A4252
	s_cselect_b32 s20, s36, s60                                // 000000007A8C: 85143C24
	v_readlane_b32 s82, v3, 5                                  // 000000007A90: D2890052 00010B03
	s_and_b32 s82, s82, 0xffffff                               // 000000007A98: 8652FF52 00FFFFFF
	s_cmp_lt_u32 s82, s66                                      // 000000007AA0: BF0A4252
	s_cselect_b32 s21, s36, s60                                // 000000007AA4: 85153C24
	s_mov_b64 exec, s[20:21]                                   // 000000007AA8: BEFE0114
	global_atomic_add_f32 v6, v118, s[8:9] offset:8            // 000000007AAC: DD348008 00087606
	global_atomic_add_f32 v6, v122, s[8:9] offset:264          // 000000007AB4: DD348108 00087A06
	global_atomic_add_f32 v6, v126, s[8:9] offset:520          // 000000007ABC: DD348208 00087E06
	global_atomic_add_f32 v6, v130, s[8:9] offset:776          // 000000007AC4: DD348308 00088206
	s_mov_b64 exec, s[36:37]                                   // 000000007ACC: BEFE0124
	v_mov_b32_e32 v6, v45                                      // 000000007AD0: 7E0C032D
	s_mov_b64 s[60:61], 0                                      // 000000007AD4: BEBC0180
	v_readlane_b32 s82, v3, 6                                  // 000000007AD8: D2890052 00010D03
	s_and_b32 s82, s82, 0xffffff                               // 000000007AE0: 8652FF52 00FFFFFF
	s_cmp_lt_u32 s82, s66                                      // 000000007AE8: BF0A4252
	s_cselect_b32 s20, s36, s60                                // 000000007AEC: 85143C24
	v_readlane_b32 s82, v3, 7                                  // 000000007AF0: D2890052 00010F03
	s_and_b32 s82, s82, 0xffffff                               // 000000007AF8: 8652FF52 00FFFFFF
	s_cmp_lt_u32 s82, s66                                      // 000000007B00: BF0A4252
	s_cselect_b32 s21, s36, s60                                // 000000007B04: 85153C24
	s_mov_b64 exec, s[20:21]                                   // 000000007B08: BEFE0114
	global_atomic_add_f32 v6, v119, s[8:9] offset:8            // 000000007B0C: DD348008 00087706
	global_atomic_add_f32 v6, v123, s[8:9] offset:264          // 000000007B14: DD348108 00087B06
	global_atomic_add_f32 v6, v127, s[8:9] offset:520          // 000000007B1C: DD348208 00087F06
	global_atomic_add_f32 v6, v131, s[8:9] offset:776          // 000000007B24: DD348308 00088306
	s_mov_b64 exec, s[36:37]                                   // 000000007B2C: BEFE0124
	v_mov_b32_e32 v6, v46                                      // 000000007B30: 7E0C032E
	s_mov_b64 s[60:61], 0                                      // 000000007B34: BEBC0180
	v_readlane_b32 s82, v3, 8                                  // 000000007B38: D2890052 00011103
	s_and_b32 s82, s82, 0xffffff                               // 000000007B40: 8652FF52 00FFFFFF
	s_cmp_lt_u32 s82, s66                                      // 000000007B48: BF0A4252
	s_cselect_b32 s20, s36, s60                                // 000000007B4C: 85143C24
	v_readlane_b32 s82, v3, 9                                  // 000000007B50: D2890052 00011303
	s_and_b32 s82, s82, 0xffffff                               // 000000007B58: 8652FF52 00FFFFFF
	s_cmp_lt_u32 s82, s66                                      // 000000007B60: BF0A4252
	s_cselect_b32 s21, s36, s60                                // 000000007B64: 85153C24
	s_mov_b64 exec, s[20:21]                                   // 000000007B68: BEFE0114
	global_atomic_add_f32 v6, v134, s[8:9] offset:8            // 000000007B6C: DD348008 00088606
	global_atomic_add_f32 v6, v138, s[8:9] offset:264          // 000000007B74: DD348108 00088A06
	global_atomic_add_f32 v6, v142, s[8:9] offset:520          // 000000007B7C: DD348208 00088E06
	global_atomic_add_f32 v6, v146, s[8:9] offset:776          // 000000007B84: DD348308 00089206
	s_mov_b64 exec, s[36:37]                                   // 000000007B8C: BEFE0124
	v_mov_b32_e32 v6, v47                                      // 000000007B90: 7E0C032F
	s_mov_b64 s[60:61], 0                                      // 000000007B94: BEBC0180
	v_readlane_b32 s82, v3, 10                                 // 000000007B98: D2890052 00011503
	s_and_b32 s82, s82, 0xffffff                               // 000000007BA0: 8652FF52 00FFFFFF
	s_cmp_lt_u32 s82, s66                                      // 000000007BA8: BF0A4252
	s_cselect_b32 s20, s36, s60                                // 000000007BAC: 85143C24
	v_readlane_b32 s82, v3, 11                                 // 000000007BB0: D2890052 00011703
	s_and_b32 s82, s82, 0xffffff                               // 000000007BB8: 8652FF52 00FFFFFF
	s_cmp_lt_u32 s82, s66                                      // 000000007BC0: BF0A4252
	s_cselect_b32 s21, s36, s60                                // 000000007BC4: 85153C24
	s_mov_b64 exec, s[20:21]                                   // 000000007BC8: BEFE0114
	global_atomic_add_f32 v6, v135, s[8:9] offset:8            // 000000007BCC: DD348008 00088706
	global_atomic_add_f32 v6, v139, s[8:9] offset:264          // 000000007BD4: DD348108 00088B06
	global_atomic_add_f32 v6, v143, s[8:9] offset:520          // 000000007BDC: DD348208 00088F06
	global_atomic_add_f32 v6, v147, s[8:9] offset:776          // 000000007BE4: DD348308 00089306
	s_mov_b64 exec, s[36:37]                                   // 000000007BEC: BEFE0124
	s_branch label_2689                                        // 000000007BF0: BF821209

0000000000007bf4 <label_1480>:
	s_waitcnt vmcnt(14) lgkmcnt(0)                             // 000000007BF4: BF8C007E
	v_mfma_f32_16x16x32_fp8_fp8 v[52:55], a[48:49], a[0:1], v[52:55]// 000000007BF8: D3F30034 1CD20130
	buffer_load_dwordx4 a[112:115], v48, s[24:27], 0 offen     // 000000007C00: E05C1000 80867030
	v_mfma_f32_16x16x32_fp8_fp8 v[52:55], a[50:51], a[2:3], v[52:55]// 000000007C08: D3F30034 1CD20532
	v_mfma_f32_16x16x32_fp8_fp8 v[52:55], a[52:53], a[4:5], v[52:55]// 000000007C10: D3F30034 1CD20934
	v_mfma_f32_16x16x32_fp8_fp8 v[52:55], a[54:55], a[6:7], v[52:55]// 000000007C18: D3F30034 1CD20D36
	v_mfma_f32_16x16x32_fp8_fp8 v[64:67], a[56:57], a[0:1], v[64:67]// 000000007C20: D3F30040 1D020138
	buffer_load_dwordx4 a[116:119], v48, s[24:27], 0 offen offset:1024// 000000007C28: E05C1400 80867430
	v_mfma_f32_16x16x32_fp8_fp8 v[64:67], a[58:59], a[2:3], v[64:67]// 000000007C30: D3F30040 1D02053A
	v_mfma_f32_16x16x32_fp8_fp8 v[64:67], a[60:61], a[4:5], v[64:67]// 000000007C38: D3F30040 1D02093C
	v_mfma_f32_16x16x32_fp8_fp8 v[64:67], a[62:63], a[6:7], v[64:67]// 000000007C40: D3F30040 1D020D3E
	v_mfma_f32_16x16x32_fp8_fp8 v[76:79], a[64:65], a[0:1], v[76:79]// 000000007C48: D3F3004C 1D320140
	buffer_load_dwordx4 a[120:123], v49, s[24:27], 0 offen     // 000000007C50: E05C1000 80867831
	v_mfma_f32_16x16x32_fp8_fp8 v[76:79], a[66:67], a[2:3], v[76:79]// 000000007C58: D3F3004C 1D320542
	v_mfma_f32_16x16x32_fp8_fp8 v[76:79], a[68:69], a[4:5], v[76:79]// 000000007C60: D3F3004C 1D320944
	v_mfma_f32_16x16x32_fp8_fp8 v[76:79], a[70:71], a[6:7], v[76:79]// 000000007C68: D3F3004C 1D320D46
	v_mfma_f32_16x16x32_fp8_fp8 v[88:91], a[72:73], a[0:1], v[88:91]// 000000007C70: D3F30058 1D620148
	buffer_load_dwordx4 a[124:127], v49, s[24:27], 0 offen offset:1024// 000000007C78: E05C1400 80867C31
	v_mfma_f32_16x16x32_fp8_fp8 v[88:91], a[74:75], a[2:3], v[88:91]// 000000007C80: D3F30058 1D62054A
	v_mfma_f32_16x16x32_fp8_fp8 v[88:91], a[76:77], a[4:5], v[88:91]// 000000007C88: D3F30058 1D62094C
	v_mfma_f32_16x16x32_fp8_fp8 v[88:91], a[78:79], a[6:7], v[88:91]// 000000007C90: D3F30058 1D620D4E
	v_mfma_f32_16x16x32_fp8_fp8 v[56:59], a[48:49], a[8:9], v[56:59]// 000000007C98: D3F30038 1CE21130
	buffer_load_dwordx4 a[128:131], v50, s[24:27], 0 offen     // 000000007CA0: E05C1000 80868032
	v_mfma_f32_16x16x32_fp8_fp8 v[56:59], a[50:51], a[10:11], v[56:59]// 000000007CA8: D3F30038 1CE21532
	v_mfma_f32_16x16x32_fp8_fp8 v[56:59], a[52:53], a[12:13], v[56:59]// 000000007CB0: D3F30038 1CE21934
	v_mfma_f32_16x16x32_fp8_fp8 v[56:59], a[54:55], a[14:15], v[56:59]// 000000007CB8: D3F30038 1CE21D36
	v_mfma_f32_16x16x32_fp8_fp8 v[68:71], a[56:57], a[8:9], v[68:71]// 000000007CC0: D3F30044 1D121138
	buffer_load_dwordx4 a[132:135], v50, s[24:27], 0 offen offset:1024// 000000007CC8: E05C1400 80868432
	v_mfma_f32_16x16x32_fp8_fp8 v[68:71], a[58:59], a[10:11], v[68:71]// 000000007CD0: D3F30044 1D12153A
	v_mfma_f32_16x16x32_fp8_fp8 v[68:71], a[60:61], a[12:13], v[68:71]// 000000007CD8: D3F30044 1D12193C
	v_mfma_f32_16x16x32_fp8_fp8 v[68:71], a[62:63], a[14:15], v[68:71]// 000000007CE0: D3F30044 1D121D3E
	v_mfma_f32_16x16x32_fp8_fp8 v[80:83], a[64:65], a[8:9], v[80:83]// 000000007CE8: D3F30050 1D421140
	buffer_load_dwordx4 a[136:139], v51, s[24:27], 0 offen     // 000000007CF0: E05C1000 80868833
	v_mfma_f32_16x16x32_fp8_fp8 v[80:83], a[66:67], a[10:11], v[80:83]// 000000007CF8: D3F30050 1D421542
	v_mfma_f32_16x16x32_fp8_fp8 v[80:83], a[68:69], a[12:13], v[80:83]// 000000007D00: D3F30050 1D421944
	v_mfma_f32_16x16x32_fp8_fp8 v[80:83], a[70:71], a[14:15], v[80:83]// 000000007D08: D3F30050 1D421D46
	v_mfma_f32_16x16x32_fp8_fp8 v[92:95], a[72:73], a[8:9], v[92:95]// 000000007D10: D3F3005C 1D721148
	buffer_load_dwordx4 a[140:143], v51, s[24:27], 0 offen offset:1024// 000000007D18: E05C1400 80868C33
	buffer_load_dword v42, s[20:23], 0 offen lds               // 000000007D20: E0511000 8005002A
	s_add_u32 m0, 0x100, s50                                   // 000000007D28: 807C32FF 00000100
	v_mfma_f32_16x16x32_fp8_fp8 v[92:95], a[74:75], a[10:11], v[92:95]// 000000007D30: D3F3005C 1D72154A
	v_mfma_f32_16x16x32_fp8_fp8 v[92:95], a[76:77], a[12:13], v[92:95]// 000000007D38: D3F3005C 1D72194C
	buffer_load_dword v43, s[20:23], 0 offen lds               // 000000007D40: E0511000 8005002B
	s_add_u32 m0, 0x200, s50                                   // 000000007D48: 807C32FF 00000200
	v_mfma_f32_16x16x32_fp8_fp8 v[92:95], a[78:79], a[14:15], v[92:95]// 000000007D50: D3F3005C 1D721D4E
	v_mfma_f32_16x16x32_fp8_fp8 v[60:63], a[48:49], a[16:17], v[60:63]// 000000007D58: D3F3003C 1CF22130
	buffer_load_dword v44, s[20:23], 0 offen lds               // 000000007D60: E0511000 8005002C
	s_add_u32 m0, 0x300, s50                                   // 000000007D68: 807C32FF 00000300
	v_mfma_f32_16x16x32_fp8_fp8 v[60:63], a[50:51], a[18:19], v[60:63]// 000000007D70: D3F3003C 1CF22532
	v_mfma_f32_16x16x32_fp8_fp8 v[60:63], a[52:53], a[20:21], v[60:63]// 000000007D78: D3F3003C 1CF22934
	buffer_load_dword v45, s[20:23], 0 offen lds               // 000000007D80: E0511000 8005002D
	s_add_u32 m0, 0x400, s50                                   // 000000007D88: 807C32FF 00000400
	v_mfma_f32_16x16x32_fp8_fp8 v[60:63], a[54:55], a[22:23], v[60:63]// 000000007D90: D3F3003C 1CF22D36
	v_mfma_f32_16x16x32_fp8_fp8 v[72:75], a[56:57], a[16:17], v[72:75]// 000000007D98: D3F30048 1D222138
	buffer_load_dword v46, s[20:23], 0 offen lds               // 000000007DA0: E0511000 8005002E
	s_add_u32 m0, 0x500, s50                                   // 000000007DA8: 807C32FF 00000500
	v_mfma_f32_16x16x32_fp8_fp8 v[72:75], a[58:59], a[18:19], v[72:75]// 000000007DB0: D3F30048 1D22253A
	v_mfma_f32_16x16x32_fp8_fp8 v[72:75], a[60:61], a[20:21], v[72:75]// 000000007DB8: D3F30048 1D22293C
	buffer_load_dword v47, s[20:23], 0 offen lds               // 000000007DC0: E0511000 8005002F
	s_add_u32 m0, 0, s48                                       // 000000007DC8: 807C3080
	v_mfma_f32_16x16x32_fp8_fp8 v[72:75], a[62:63], a[22:23], v[72:75]// 000000007DCC: D3F30048 1D222D3E
	v_mfma_f32_16x16x32_fp8_fp8 v[84:87], a[64:65], a[16:17], v[84:87]// 000000007DD4: D3F30054 1D522140
	v_mfma_f32_16x16x32_fp8_fp8 v[84:87], a[66:67], a[18:19], v[84:87]// 000000007DDC: D3F30054 1D522542
	v_mfma_f32_16x16x32_fp8_fp8 v[84:87], a[68:69], a[20:21], v[84:87]// 000000007DE4: D3F30054 1D522944
	v_mfma_f32_16x16x32_fp8_fp8 v[84:87], a[70:71], a[22:23], v[84:87]// 000000007DEC: D3F30054 1D522D46
	v_mfma_f32_16x16x32_fp8_fp8 v[96:99], a[72:73], a[16:17], v[96:99]// 000000007DF4: D3F30060 1D822148
	v_mfma_f32_16x16x32_fp8_fp8 v[96:99], a[74:75], a[18:19], v[96:99]// 000000007DFC: D3F30060 1D82254A
	v_mfma_f32_16x16x32_fp8_fp8 v[96:99], a[76:77], a[20:21], v[96:99]// 000000007E04: D3F30060 1D82294C
	v_mfma_f32_16x16x32_fp8_fp8 v[96:99], a[78:79], a[22:23], v[96:99]// 000000007E0C: D3F30060 1D822D4E
	s_waitcnt vmcnt(14)                                        // 000000007E14: BF8C0F7E
	s_barrier                                                  // 000000007E18: BF8A0000
	v_mfma_f32_16x16x32_fp8_fp8 v[100:103], a[80:81], a[0:1], v[100:103]// 000000007E1C: D3F30064 1D920150
	buffer_load_dwordx4 a[48:51], v48, s[84:87], 0 offen       // 000000007E24: E05C1000 80953030
	v_mfma_f32_16x16x32_fp8_fp8 v[100:103], a[82:83], a[2:3], v[100:103]// 000000007E2C: D3F30064 1D920552
	v_mfma_f32_16x16x32_fp8_fp8 v[100:103], a[84:85], a[4:5], v[100:103]// 000000007E34: D3F30064 1D920954
	ds_read_b128 a[24:27], v2 offset:6272                      // 000000007E3C: DBFE1880 18000002
	ds_read_b128 a[28:31], v2 offset:6336                      // 000000007E44: DBFE18C0 1C000002
	v_mfma_f32_16x16x32_fp8_fp8 v[100:103], a[86:87], a[6:7], v[100:103]// 000000007E4C: D3F30064 1D920D56
	v_mfma_f32_16x16x32_fp8_fp8 v[112:115], a[88:89], a[0:1], v[112:115]// 000000007E54: D3F30070 1DC20158
	buffer_load_dwordx4 a[52:55], v48, s[84:87], 0 offen offset:1024// 000000007E5C: E05C1400 80953430
	v_mfma_f32_16x16x32_fp8_fp8 v[112:115], a[90:91], a[2:3], v[112:115]// 000000007E64: D3F30070 1DC2055A
	v_mfma_f32_16x16x32_fp8_fp8 v[112:115], a[92:93], a[4:5], v[112:115]// 000000007E6C: D3F30070 1DC2095C
	ds_read_b128 a[32:35], v2 offset:6784                      // 000000007E74: DBFE1A80 20000002
	ds_read_b128 a[36:39], v2 offset:6848                      // 000000007E7C: DBFE1AC0 24000002
	v_mfma_f32_16x16x32_fp8_fp8 v[112:115], a[94:95], a[6:7], v[112:115]// 000000007E84: D3F30070 1DC20D5E
	v_mfma_f32_16x16x32_fp8_fp8 v[124:127], a[96:97], a[0:1], v[124:127]// 000000007E8C: D3F3007C 1DF20160
	buffer_load_dwordx4 a[56:59], v49, s[84:87], 0 offen       // 000000007E94: E05C1000 80953831
	v_mfma_f32_16x16x32_fp8_fp8 v[124:127], a[98:99], a[2:3], v[124:127]// 000000007E9C: D3F3007C 1DF20562
	v_mfma_f32_16x16x32_fp8_fp8 v[124:127], a[100:101], a[4:5], v[124:127]// 000000007EA4: D3F3007C 1DF20964
	ds_read_b128 a[40:43], v2 offset:7296                      // 000000007EAC: DBFE1C80 28000002
	ds_read_b128 a[44:47], v2 offset:7360                      // 000000007EB4: DBFE1CC0 2C000002
	v_mfma_f32_16x16x32_fp8_fp8 v[124:127], a[102:103], a[6:7], v[124:127]// 000000007EBC: D3F3007C 1DF20D66
	v_mfma_f32_16x16x32_fp8_fp8 v[136:139], a[104:105], a[0:1], v[136:139]// 000000007EC4: D3F30088 1E220168
	buffer_load_dwordx4 a[60:63], v49, s[84:87], 0 offen offset:1024// 000000007ECC: E05C1400 80953C31
	v_mfma_f32_16x16x32_fp8_fp8 v[136:139], a[106:107], a[2:3], v[136:139]// 000000007ED4: D3F30088 1E22056A
	v_mfma_f32_16x16x32_fp8_fp8 v[136:139], a[108:109], a[4:5], v[136:139]// 000000007EDC: D3F30088 1E22096C
	v_mfma_f32_16x16x32_fp8_fp8 v[136:139], a[110:111], a[6:7], v[136:139]// 000000007EE4: D3F30088 1E220D6E
	v_mfma_f32_16x16x32_fp8_fp8 v[104:107], a[80:81], a[8:9], v[104:107]// 000000007EEC: D3F30068 1DA21150
	buffer_load_dwordx4 a[64:67], v50, s[84:87], 0 offen       // 000000007EF4: E05C1000 80954032
	v_mfma_f32_16x16x32_fp8_fp8 v[104:107], a[82:83], a[10:11], v[104:107]// 000000007EFC: D3F30068 1DA21552
	v_mfma_f32_16x16x32_fp8_fp8 v[104:107], a[84:85], a[12:13], v[104:107]// 000000007F04: D3F30068 1DA21954
	v_mfma_f32_16x16x32_fp8_fp8 v[104:107], a[86:87], a[14:15], v[104:107]// 000000007F0C: D3F30068 1DA21D56
	v_mfma_f32_16x16x32_fp8_fp8 v[116:119], a[88:89], a[8:9], v[116:119]// 000000007F14: D3F30074 1DD21158
	buffer_load_dwordx4 a[68:71], v50, s[84:87], 0 offen offset:1024// 000000007F1C: E05C1400 80954432
	v_mfma_f32_16x16x32_fp8_fp8 v[116:119], a[90:91], a[10:11], v[116:119]// 000000007F24: D3F30074 1DD2155A
	v_mfma_f32_16x16x32_fp8_fp8 v[116:119], a[92:93], a[12:13], v[116:119]// 000000007F2C: D3F30074 1DD2195C
	v_mfma_f32_16x16x32_fp8_fp8 v[116:119], a[94:95], a[14:15], v[116:119]// 000000007F34: D3F30074 1DD21D5E
	v_mfma_f32_16x16x32_fp8_fp8 v[128:131], a[96:97], a[8:9], v[128:131]// 000000007F3C: D3F30080 1E021160
	buffer_load_dwordx4 a[72:75], v51, s[84:87], 0 offen       // 000000007F44: E05C1000 80954833
	v_mfma_f32_16x16x32_fp8_fp8 v[128:131], a[98:99], a[10:11], v[128:131]// 000000007F4C: D3F30080 1E021562
	v_mfma_f32_16x16x32_fp8_fp8 v[128:131], a[100:101], a[12:13], v[128:131]// 000000007F54: D3F30080 1E021964
	v_mfma_f32_16x16x32_fp8_fp8 v[128:131], a[102:103], a[14:15], v[128:131]// 000000007F5C: D3F30080 1E021D66
	v_mfma_f32_16x16x32_fp8_fp8 v[140:143], a[104:105], a[8:9], v[140:143]// 000000007F64: D3F3008C 1E321168
	buffer_load_dwordx4 a[76:79], v51, s[84:87], 0 offen offset:1024// 000000007F6C: E05C1400 80954C33
	v_mfma_f32_16x16x32_fp8_fp8 v[140:143], a[106:107], a[10:11], v[140:143]// 000000007F74: D3F3008C 1E32156A
	v_mfma_f32_16x16x32_fp8_fp8 v[140:143], a[108:109], a[12:13], v[140:143]// 000000007F7C: D3F3008C 1E32196C
	v_mfma_f32_16x16x32_fp8_fp8 v[140:143], a[110:111], a[14:15], v[140:143]// 000000007F84: D3F3008C 1E321D6E
	v_mfma_f32_16x16x32_fp8_fp8 v[108:111], a[80:81], a[16:17], v[108:111]// 000000007F8C: D3F3006C 1DB22150
	v_mfma_f32_16x16x32_fp8_fp8 v[108:111], a[82:83], a[18:19], v[108:111]// 000000007F94: D3F3006C 1DB22552
	v_mfma_f32_16x16x32_fp8_fp8 v[108:111], a[84:85], a[20:21], v[108:111]// 000000007F9C: D3F3006C 1DB22954
	v_mfma_f32_16x16x32_fp8_fp8 v[108:111], a[86:87], a[22:23], v[108:111]// 000000007FA4: D3F3006C 1DB22D56
	v_mfma_f32_16x16x32_fp8_fp8 v[120:123], a[88:89], a[16:17], v[120:123]// 000000007FAC: D3F30078 1DE22158
	v_mfma_f32_16x16x32_fp8_fp8 v[120:123], a[90:91], a[18:19], v[120:123]// 000000007FB4: D3F30078 1DE2255A
	v_mfma_f32_16x16x32_fp8_fp8 v[120:123], a[92:93], a[20:21], v[120:123]// 000000007FBC: D3F30078 1DE2295C
	v_mfma_f32_16x16x32_fp8_fp8 v[120:123], a[94:95], a[22:23], v[120:123]// 000000007FC4: D3F30078 1DE22D5E
	v_mfma_f32_16x16x32_fp8_fp8 v[132:135], a[96:97], a[16:17], v[132:135]// 000000007FCC: D3F30084 1E122160
	s_add_u32 s60, 0x180, s80                                  // 000000007FD4: 803C50FF 00000180
	s_cmp_lt_u32 s60, s81                                      // 000000007FDC: BF0A513C
	s_cselect_b32 s57, s57, 0                                  // 000000007FE0: 85398039
	v_mfma_f32_16x16x32_fp8_fp8 v[132:135], a[98:99], a[18:19], v[132:135]// 000000007FE4: D3F30084 1E122562
	s_add_u32 s60, 0x100, s80                                  // 000000007FEC: 803C50FF 00000100
	s_cmp_lt_u32 s60, s81                                      // 000000007FF4: BF0A513C
	s_cselect_b32 s58, s58, 0                                  // 000000007FF8: 853A803A
	v_mfma_f32_16x16x32_fp8_fp8 v[132:135], a[100:101], a[20:21], v[132:135]// 000000007FFC: D3F30084 1E122964
	s_add_u32 s60, 0x100, s80                                  // 000000008004: 803C50FF 00000100
	s_cmp_lt_u32 s60, s81                                      // 00000000800C: BF0A513C
	s_cselect_b32 s83, s83, 0                                  // 000000008010: 85538053
	v_mfma_f32_16x16x32_fp8_fp8 v[132:135], a[102:103], a[22:23], v[132:135]// 000000008014: D3F30084 1E122D66
	s_add_u32 s24, s58, s24                                    // 00000000801C: 8018183A
	s_addc_u32 s25, 0, s25                                     // 000000008020: 82191980
	v_mfma_f32_16x16x32_fp8_fp8 v[144:147], a[104:105], a[16:17], v[144:147]// 000000008024: D3F30090 1E422168
	s_add_u32 s20, s57, s20                                    // 00000000802C: 80141439
	s_addc_u32 s21, 0, s21                                     // 000000008030: 82151580
	v_mfma_f32_16x16x32_fp8_fp8 v[144:147], a[106:107], a[18:19], v[144:147]// 000000008034: D3F30090 1E42256A
	s_add_u32 s84, s83, s84                                    // 00000000803C: 80545453
	s_addc_u32 s85, 0, s85                                     // 000000008040: 82555580
	v_mfma_f32_16x16x32_fp8_fp8 v[144:147], a[108:109], a[20:21], v[144:147]// 000000008044: D3F30090 1E42296C
	v_mfma_f32_16x16x32_fp8_fp8 v[144:147], a[110:111], a[22:23], v[144:147]// 00000000804C: D3F30090 1E422D6E
	s_addk_i32 s80, 0x80                                       // 000000008054: B7500080
	s_cmp_lt_i32 s80, s81                                      // 000000008058: BF045150
	s_cbranch_scc0 label_1B23                                  // 00000000805C: BF840588
	s_waitcnt vmcnt(14) lgkmcnt(0)                             // 000000008060: BF8C007E
	v_mfma_f32_16x16x32_fp8_fp8 v[52:55], a[112:113], a[24:25], v[52:55]// 000000008064: D3F30034 1CD23170
	buffer_load_dwordx4 a[80:83], v48, s[24:27], 0 offen       // 00000000806C: E05C1000 80865030
	v_mfma_f32_16x16x32_fp8_fp8 v[52:55], a[114:115], a[26:27], v[52:55]// 000000008074: D3F30034 1CD23572
	v_mfma_f32_16x16x32_fp8_fp8 v[52:55], a[116:117], a[28:29], v[52:55]// 00000000807C: D3F30034 1CD23974
	v_mfma_f32_16x16x32_fp8_fp8 v[52:55], a[118:119], a[30:31], v[52:55]// 000000008084: D3F30034 1CD23D76
	v_mfma_f32_16x16x32_fp8_fp8 v[64:67], a[120:121], a[24:25], v[64:67]// 00000000808C: D3F30040 1D023178
	buffer_load_dwordx4 a[84:87], v48, s[24:27], 0 offen offset:1024// 000000008094: E05C1400 80865430
	v_mfma_f32_16x16x32_fp8_fp8 v[64:67], a[122:123], a[26:27], v[64:67]// 00000000809C: D3F30040 1D02357A
	v_mfma_f32_16x16x32_fp8_fp8 v[64:67], a[124:125], a[28:29], v[64:67]// 0000000080A4: D3F30040 1D02397C
	v_mfma_f32_16x16x32_fp8_fp8 v[64:67], a[126:127], a[30:31], v[64:67]// 0000000080AC: D3F30040 1D023D7E
	v_mfma_f32_16x16x32_fp8_fp8 v[76:79], a[128:129], a[24:25], v[76:79]// 0000000080B4: D3F3004C 1D323180
	buffer_load_dwordx4 a[88:91], v49, s[24:27], 0 offen       // 0000000080BC: E05C1000 80865831
	v_mfma_f32_16x16x32_fp8_fp8 v[76:79], a[130:131], a[26:27], v[76:79]// 0000000080C4: D3F3004C 1D323582
	v_mfma_f32_16x16x32_fp8_fp8 v[76:79], a[132:133], a[28:29], v[76:79]// 0000000080CC: D3F3004C 1D323984
	v_mfma_f32_16x16x32_fp8_fp8 v[76:79], a[134:135], a[30:31], v[76:79]// 0000000080D4: D3F3004C 1D323D86
	v_mfma_f32_16x16x32_fp8_fp8 v[88:91], a[136:137], a[24:25], v[88:91]// 0000000080DC: D3F30058 1D623188
	buffer_load_dwordx4 a[92:95], v49, s[24:27], 0 offen offset:1024// 0000000080E4: E05C1400 80865C31
	v_mfma_f32_16x16x32_fp8_fp8 v[88:91], a[138:139], a[26:27], v[88:91]// 0000000080EC: D3F30058 1D62358A
	v_mfma_f32_16x16x32_fp8_fp8 v[88:91], a[140:141], a[28:29], v[88:91]// 0000000080F4: D3F30058 1D62398C
	v_mfma_f32_16x16x32_fp8_fp8 v[88:91], a[142:143], a[30:31], v[88:91]// 0000000080FC: D3F30058 1D623D8E
	v_mfma_f32_16x16x32_fp8_fp8 v[56:59], a[112:113], a[32:33], v[56:59]// 000000008104: D3F30038 1CE24170
	buffer_load_dwordx4 a[96:99], v50, s[24:27], 0 offen       // 00000000810C: E05C1000 80866032
	v_mfma_f32_16x16x32_fp8_fp8 v[56:59], a[114:115], a[34:35], v[56:59]// 000000008114: D3F30038 1CE24572
	v_mfma_f32_16x16x32_fp8_fp8 v[56:59], a[116:117], a[36:37], v[56:59]// 00000000811C: D3F30038 1CE24974
	v_mfma_f32_16x16x32_fp8_fp8 v[56:59], a[118:119], a[38:39], v[56:59]// 000000008124: D3F30038 1CE24D76
	v_mfma_f32_16x16x32_fp8_fp8 v[68:71], a[120:121], a[32:33], v[68:71]// 00000000812C: D3F30044 1D124178
	buffer_load_dwordx4 a[100:103], v50, s[24:27], 0 offen offset:1024// 000000008134: E05C1400 80866432
	v_mfma_f32_16x16x32_fp8_fp8 v[68:71], a[122:123], a[34:35], v[68:71]// 00000000813C: D3F30044 1D12457A
	v_mfma_f32_16x16x32_fp8_fp8 v[68:71], a[124:125], a[36:37], v[68:71]// 000000008144: D3F30044 1D12497C
	v_mfma_f32_16x16x32_fp8_fp8 v[68:71], a[126:127], a[38:39], v[68:71]// 00000000814C: D3F30044 1D124D7E
	v_mfma_f32_16x16x32_fp8_fp8 v[80:83], a[128:129], a[32:33], v[80:83]// 000000008154: D3F30050 1D424180
	buffer_load_dwordx4 a[104:107], v51, s[24:27], 0 offen     // 00000000815C: E05C1000 80866833
	v_mfma_f32_16x16x32_fp8_fp8 v[80:83], a[130:131], a[34:35], v[80:83]// 000000008164: D3F30050 1D424582
	v_mfma_f32_16x16x32_fp8_fp8 v[80:83], a[132:133], a[36:37], v[80:83]// 00000000816C: D3F30050 1D424984
	v_mfma_f32_16x16x32_fp8_fp8 v[80:83], a[134:135], a[38:39], v[80:83]// 000000008174: D3F30050 1D424D86
	v_mfma_f32_16x16x32_fp8_fp8 v[92:95], a[136:137], a[32:33], v[92:95]// 00000000817C: D3F3005C 1D724188
	buffer_load_dwordx4 a[108:111], v51, s[24:27], 0 offen offset:1024// 000000008184: E05C1400 80866C33
	buffer_load_dword v42, s[20:23], 0 offen lds               // 00000000818C: E0511000 8005002A
	s_add_u32 m0, 0x100, s48                                   // 000000008194: 807C30FF 00000100
	v_mfma_f32_16x16x32_fp8_fp8 v[92:95], a[138:139], a[34:35], v[92:95]// 00000000819C: D3F3005C 1D72458A
	v_mfma_f32_16x16x32_fp8_fp8 v[92:95], a[140:141], a[36:37], v[92:95]// 0000000081A4: D3F3005C 1D72498C
	buffer_load_dword v43, s[20:23], 0 offen lds               // 0000000081AC: E0511000 8005002B
	s_add_u32 m0, 0x200, s48                                   // 0000000081B4: 807C30FF 00000200
	v_mfma_f32_16x16x32_fp8_fp8 v[92:95], a[142:143], a[38:39], v[92:95]// 0000000081BC: D3F3005C 1D724D8E
	v_mfma_f32_16x16x32_fp8_fp8 v[60:63], a[112:113], a[40:41], v[60:63]// 0000000081C4: D3F3003C 1CF25170
	buffer_load_dword v44, s[20:23], 0 offen lds               // 0000000081CC: E0511000 8005002C
	s_add_u32 m0, 0x300, s48                                   // 0000000081D4: 807C30FF 00000300
	v_mfma_f32_16x16x32_fp8_fp8 v[60:63], a[114:115], a[42:43], v[60:63]// 0000000081DC: D3F3003C 1CF25572
	v_mfma_f32_16x16x32_fp8_fp8 v[60:63], a[116:117], a[44:45], v[60:63]// 0000000081E4: D3F3003C 1CF25974
	buffer_load_dword v45, s[20:23], 0 offen lds               // 0000000081EC: E0511000 8005002D
	s_add_u32 m0, 0x400, s48                                   // 0000000081F4: 807C30FF 00000400
	v_mfma_f32_16x16x32_fp8_fp8 v[60:63], a[118:119], a[46:47], v[60:63]// 0000000081FC: D3F3003C 1CF25D76
	v_mfma_f32_16x16x32_fp8_fp8 v[72:75], a[120:121], a[40:41], v[72:75]// 000000008204: D3F30048 1D225178
	buffer_load_dword v46, s[20:23], 0 offen lds               // 00000000820C: E0511000 8005002E
	s_add_u32 m0, 0x500, s48                                   // 000000008214: 807C30FF 00000500
	v_mfma_f32_16x16x32_fp8_fp8 v[72:75], a[122:123], a[42:43], v[72:75]// 00000000821C: D3F30048 1D22557A
	v_mfma_f32_16x16x32_fp8_fp8 v[72:75], a[124:125], a[44:45], v[72:75]// 000000008224: D3F30048 1D22597C
	buffer_load_dword v47, s[20:23], 0 offen lds               // 00000000822C: E0511000 8005002F
	s_add_u32 m0, 0, s49                                       // 000000008234: 807C3180
	v_mfma_f32_16x16x32_fp8_fp8 v[72:75], a[126:127], a[46:47], v[72:75]// 000000008238: D3F30048 1D225D7E
	v_mfma_f32_16x16x32_fp8_fp8 v[84:87], a[128:129], a[40:41], v[84:87]// 000000008240: D3F30054 1D525180
	v_mfma_f32_16x16x32_fp8_fp8 v[84:87], a[130:131], a[42:43], v[84:87]// 000000008248: D3F30054 1D525582
	v_mfma_f32_16x16x32_fp8_fp8 v[84:87], a[132:133], a[44:45], v[84:87]// 000000008250: D3F30054 1D525984
	v_mfma_f32_16x16x32_fp8_fp8 v[84:87], a[134:135], a[46:47], v[84:87]// 000000008258: D3F30054 1D525D86
	v_mfma_f32_16x16x32_fp8_fp8 v[96:99], a[136:137], a[40:41], v[96:99]// 000000008260: D3F30060 1D825188
	v_mfma_f32_16x16x32_fp8_fp8 v[96:99], a[138:139], a[42:43], v[96:99]// 000000008268: D3F30060 1D82558A
	v_mfma_f32_16x16x32_fp8_fp8 v[96:99], a[140:141], a[44:45], v[96:99]// 000000008270: D3F30060 1D82598C
	v_mfma_f32_16x16x32_fp8_fp8 v[96:99], a[142:143], a[46:47], v[96:99]// 000000008278: D3F30060 1D825D8E
	s_waitcnt vmcnt(14)                                        // 000000008280: BF8C0F7E
	s_barrier                                                  // 000000008284: BF8A0000
	v_mfma_f32_16x16x32_fp8_fp8 v[100:103], a[48:49], a[24:25], v[100:103]// 000000008288: D3F30064 1D923130
	buffer_load_dwordx4 a[112:115], v48, s[84:87], 0 offen     // 000000008290: E05C1000 80957030
	v_mfma_f32_16x16x32_fp8_fp8 v[100:103], a[50:51], a[26:27], v[100:103]// 000000008298: D3F30064 1D923532
	v_mfma_f32_16x16x32_fp8_fp8 v[100:103], a[52:53], a[28:29], v[100:103]// 0000000082A0: D3F30064 1D923934
	ds_read_b128 a[0:3], v2 offset:12544                       // 0000000082A8: DBFE3100 00000002
	ds_read_b128 a[4:7], v2 offset:12608                       // 0000000082B0: DBFE3140 04000002
	v_mfma_f32_16x16x32_fp8_fp8 v[100:103], a[54:55], a[30:31], v[100:103]// 0000000082B8: D3F30064 1D923D36
	v_mfma_f32_16x16x32_fp8_fp8 v[112:115], a[56:57], a[24:25], v[112:115]// 0000000082C0: D3F30070 1DC23138
	buffer_load_dwordx4 a[116:119], v48, s[84:87], 0 offen offset:1024// 0000000082C8: E05C1400 80957430
	v_mfma_f32_16x16x32_fp8_fp8 v[112:115], a[58:59], a[26:27], v[112:115]// 0000000082D0: D3F30070 1DC2353A
	v_mfma_f32_16x16x32_fp8_fp8 v[112:115], a[60:61], a[28:29], v[112:115]// 0000000082D8: D3F30070 1DC2393C
	ds_read_b128 a[8:11], v2 offset:13056                      // 0000000082E0: DBFE3300 08000002
	ds_read_b128 a[12:15], v2 offset:13120                     // 0000000082E8: DBFE3340 0C000002
	v_mfma_f32_16x16x32_fp8_fp8 v[112:115], a[62:63], a[30:31], v[112:115]// 0000000082F0: D3F30070 1DC23D3E
	v_mfma_f32_16x16x32_fp8_fp8 v[124:127], a[64:65], a[24:25], v[124:127]// 0000000082F8: D3F3007C 1DF23140
	buffer_load_dwordx4 a[120:123], v49, s[84:87], 0 offen     // 000000008300: E05C1000 80957831
	v_mfma_f32_16x16x32_fp8_fp8 v[124:127], a[66:67], a[26:27], v[124:127]// 000000008308: D3F3007C 1DF23542
	v_mfma_f32_16x16x32_fp8_fp8 v[124:127], a[68:69], a[28:29], v[124:127]// 000000008310: D3F3007C 1DF23944
	ds_read_b128 a[16:19], v2 offset:13568                     // 000000008318: DBFE3500 10000002
	ds_read_b128 a[20:23], v2 offset:13632                     // 000000008320: DBFE3540 14000002
	v_mfma_f32_16x16x32_fp8_fp8 v[124:127], a[70:71], a[30:31], v[124:127]// 000000008328: D3F3007C 1DF23D46
	v_mfma_f32_16x16x32_fp8_fp8 v[136:139], a[72:73], a[24:25], v[136:139]// 000000008330: D3F30088 1E223148
	buffer_load_dwordx4 a[124:127], v49, s[84:87], 0 offen offset:1024// 000000008338: E05C1400 80957C31
	v_mfma_f32_16x16x32_fp8_fp8 v[136:139], a[74:75], a[26:27], v[136:139]// 000000008340: D3F30088 1E22354A
	v_mfma_f32_16x16x32_fp8_fp8 v[136:139], a[76:77], a[28:29], v[136:139]// 000000008348: D3F30088 1E22394C
	v_mfma_f32_16x16x32_fp8_fp8 v[136:139], a[78:79], a[30:31], v[136:139]// 000000008350: D3F30088 1E223D4E
	v_mfma_f32_16x16x32_fp8_fp8 v[104:107], a[48:49], a[32:33], v[104:107]// 000000008358: D3F30068 1DA24130
	buffer_load_dwordx4 a[128:131], v50, s[84:87], 0 offen     // 000000008360: E05C1000 80958032
	v_mfma_f32_16x16x32_fp8_fp8 v[104:107], a[50:51], a[34:35], v[104:107]// 000000008368: D3F30068 1DA24532
	v_mfma_f32_16x16x32_fp8_fp8 v[104:107], a[52:53], a[36:37], v[104:107]// 000000008370: D3F30068 1DA24934
	v_mfma_f32_16x16x32_fp8_fp8 v[104:107], a[54:55], a[38:39], v[104:107]// 000000008378: D3F30068 1DA24D36
	v_mfma_f32_16x16x32_fp8_fp8 v[116:119], a[56:57], a[32:33], v[116:119]// 000000008380: D3F30074 1DD24138
	buffer_load_dwordx4 a[132:135], v50, s[84:87], 0 offen offset:1024// 000000008388: E05C1400 80958432
	v_mfma_f32_16x16x32_fp8_fp8 v[116:119], a[58:59], a[34:35], v[116:119]// 000000008390: D3F30074 1DD2453A
	v_mfma_f32_16x16x32_fp8_fp8 v[116:119], a[60:61], a[36:37], v[116:119]// 000000008398: D3F30074 1DD2493C
	v_mfma_f32_16x16x32_fp8_fp8 v[116:119], a[62:63], a[38:39], v[116:119]// 0000000083A0: D3F30074 1DD24D3E
	v_mfma_f32_16x16x32_fp8_fp8 v[128:131], a[64:65], a[32:33], v[128:131]// 0000000083A8: D3F30080 1E024140
	buffer_load_dwordx4 a[136:139], v51, s[84:87], 0 offen     // 0000000083B0: E05C1000 80958833
	v_mfma_f32_16x16x32_fp8_fp8 v[128:131], a[66:67], a[34:35], v[128:131]// 0000000083B8: D3F30080 1E024542
	v_mfma_f32_16x16x32_fp8_fp8 v[128:131], a[68:69], a[36:37], v[128:131]// 0000000083C0: D3F30080 1E024944
	v_mfma_f32_16x16x32_fp8_fp8 v[128:131], a[70:71], a[38:39], v[128:131]// 0000000083C8: D3F30080 1E024D46
	v_mfma_f32_16x16x32_fp8_fp8 v[140:143], a[72:73], a[32:33], v[140:143]// 0000000083D0: D3F3008C 1E324148
	buffer_load_dwordx4 a[140:143], v51, s[84:87], 0 offen offset:1024// 0000000083D8: E05C1400 80958C33
	v_mfma_f32_16x16x32_fp8_fp8 v[140:143], a[74:75], a[34:35], v[140:143]// 0000000083E0: D3F3008C 1E32454A
	v_mfma_f32_16x16x32_fp8_fp8 v[140:143], a[76:77], a[36:37], v[140:143]// 0000000083E8: D3F3008C 1E32494C
	v_mfma_f32_16x16x32_fp8_fp8 v[140:143], a[78:79], a[38:39], v[140:143]// 0000000083F0: D3F3008C 1E324D4E
	v_mfma_f32_16x16x32_fp8_fp8 v[108:111], a[48:49], a[40:41], v[108:111]// 0000000083F8: D3F3006C 1DB25130
	v_mfma_f32_16x16x32_fp8_fp8 v[108:111], a[50:51], a[42:43], v[108:111]// 000000008400: D3F3006C 1DB25532
	v_mfma_f32_16x16x32_fp8_fp8 v[108:111], a[52:53], a[44:45], v[108:111]// 000000008408: D3F3006C 1DB25934
	v_mfma_f32_16x16x32_fp8_fp8 v[108:111], a[54:55], a[46:47], v[108:111]// 000000008410: D3F3006C 1DB25D36
	v_mfma_f32_16x16x32_fp8_fp8 v[120:123], a[56:57], a[40:41], v[120:123]// 000000008418: D3F30078 1DE25138
	v_mfma_f32_16x16x32_fp8_fp8 v[120:123], a[58:59], a[42:43], v[120:123]// 000000008420: D3F30078 1DE2553A
	v_mfma_f32_16x16x32_fp8_fp8 v[120:123], a[60:61], a[44:45], v[120:123]// 000000008428: D3F30078 1DE2593C
	v_mfma_f32_16x16x32_fp8_fp8 v[120:123], a[62:63], a[46:47], v[120:123]// 000000008430: D3F30078 1DE25D3E
	v_mfma_f32_16x16x32_fp8_fp8 v[132:135], a[64:65], a[40:41], v[132:135]// 000000008438: D3F30084 1E125140
	s_add_u32 s60, 0x180, s80                                  // 000000008440: 803C50FF 00000180
	s_cmp_lt_u32 s60, s81                                      // 000000008448: BF0A513C
	s_cselect_b32 s57, s57, 0                                  // 00000000844C: 85398039
	v_mfma_f32_16x16x32_fp8_fp8 v[132:135], a[66:67], a[42:43], v[132:135]// 000000008450: D3F30084 1E125542
	s_add_u32 s60, 0x100, s80                                  // 000000008458: 803C50FF 00000100
	s_cmp_lt_u32 s60, s81                                      // 000000008460: BF0A513C
	s_cselect_b32 s58, s58, 0                                  // 000000008464: 853A803A
	v_mfma_f32_16x16x32_fp8_fp8 v[132:135], a[68:69], a[44:45], v[132:135]// 000000008468: D3F30084 1E125944
	s_add_u32 s60, 0x100, s80                                  // 000000008470: 803C50FF 00000100
	s_cmp_lt_u32 s60, s81                                      // 000000008478: BF0A513C
	s_cselect_b32 s83, s83, 0                                  // 00000000847C: 85538053
	v_mfma_f32_16x16x32_fp8_fp8 v[132:135], a[70:71], a[46:47], v[132:135]// 000000008480: D3F30084 1E125D46
	s_add_u32 s24, s58, s24                                    // 000000008488: 8018183A
	s_addc_u32 s25, 0, s25                                     // 00000000848C: 82191980
	v_mfma_f32_16x16x32_fp8_fp8 v[144:147], a[72:73], a[40:41], v[144:147]// 000000008490: D3F30090 1E425148
	s_add_u32 s20, s57, s20                                    // 000000008498: 80141439
	s_addc_u32 s21, 0, s21                                     // 00000000849C: 82151580
	v_mfma_f32_16x16x32_fp8_fp8 v[144:147], a[74:75], a[42:43], v[144:147]// 0000000084A0: D3F30090 1E42554A
	s_add_u32 s84, s83, s84                                    // 0000000084A8: 80545453
	s_addc_u32 s85, 0, s85                                     // 0000000084AC: 82555580
	v_mfma_f32_16x16x32_fp8_fp8 v[144:147], a[76:77], a[44:45], v[144:147]// 0000000084B0: D3F30090 1E42594C
	v_mfma_f32_16x16x32_fp8_fp8 v[144:147], a[78:79], a[46:47], v[144:147]// 0000000084B8: D3F30090 1E425D4E
	s_addk_i32 s80, 0x80                                       // 0000000084C0: B7500080
	s_cmp_lt_i32 s80, s81                                      // 0000000084C4: BF045150
	s_cbranch_scc0 label_1B23                                  // 0000000084C8: BF84046D
	s_waitcnt vmcnt(14) lgkmcnt(0)                             // 0000000084CC: BF8C007E
	v_mfma_f32_16x16x32_fp8_fp8 v[52:55], a[80:81], a[0:1], v[52:55]// 0000000084D0: D3F30034 1CD20150
	buffer_load_dwordx4 a[48:51], v48, s[24:27], 0 offen       // 0000000084D8: E05C1000 80863030
	v_mfma_f32_16x16x32_fp8_fp8 v[52:55], a[82:83], a[2:3], v[52:55]// 0000000084E0: D3F30034 1CD20552
	v_mfma_f32_16x16x32_fp8_fp8 v[52:55], a[84:85], a[4:5], v[52:55]// 0000000084E8: D3F30034 1CD20954
	v_mfma_f32_16x16x32_fp8_fp8 v[52:55], a[86:87], a[6:7], v[52:55]// 0000000084F0: D3F30034 1CD20D56
	v_mfma_f32_16x16x32_fp8_fp8 v[64:67], a[88:89], a[0:1], v[64:67]// 0000000084F8: D3F30040 1D020158
	buffer_load_dwordx4 a[52:55], v48, s[24:27], 0 offen offset:1024// 000000008500: E05C1400 80863430
	v_mfma_f32_16x16x32_fp8_fp8 v[64:67], a[90:91], a[2:3], v[64:67]// 000000008508: D3F30040 1D02055A
	v_mfma_f32_16x16x32_fp8_fp8 v[64:67], a[92:93], a[4:5], v[64:67]// 000000008510: D3F30040 1D02095C
	v_mfma_f32_16x16x32_fp8_fp8 v[64:67], a[94:95], a[6:7], v[64:67]// 000000008518: D3F30040 1D020D5E
	v_mfma_f32_16x16x32_fp8_fp8 v[76:79], a[96:97], a[0:1], v[76:79]// 000000008520: D3F3004C 1D320160
	buffer_load_dwordx4 a[56:59], v49, s[24:27], 0 offen       // 000000008528: E05C1000 80863831
	v_mfma_f32_16x16x32_fp8_fp8 v[76:79], a[98:99], a[2:3], v[76:79]// 000000008530: D3F3004C 1D320562
	v_mfma_f32_16x16x32_fp8_fp8 v[76:79], a[100:101], a[4:5], v[76:79]// 000000008538: D3F3004C 1D320964
	v_mfma_f32_16x16x32_fp8_fp8 v[76:79], a[102:103], a[6:7], v[76:79]// 000000008540: D3F3004C 1D320D66
	v_mfma_f32_16x16x32_fp8_fp8 v[88:91], a[104:105], a[0:1], v[88:91]// 000000008548: D3F30058 1D620168
	buffer_load_dwordx4 a[60:63], v49, s[24:27], 0 offen offset:1024// 000000008550: E05C1400 80863C31
	v_mfma_f32_16x16x32_fp8_fp8 v[88:91], a[106:107], a[2:3], v[88:91]// 000000008558: D3F30058 1D62056A
	v_mfma_f32_16x16x32_fp8_fp8 v[88:91], a[108:109], a[4:5], v[88:91]// 000000008560: D3F30058 1D62096C
	v_mfma_f32_16x16x32_fp8_fp8 v[88:91], a[110:111], a[6:7], v[88:91]// 000000008568: D3F30058 1D620D6E
	v_mfma_f32_16x16x32_fp8_fp8 v[56:59], a[80:81], a[8:9], v[56:59]// 000000008570: D3F30038 1CE21150
	buffer_load_dwordx4 a[64:67], v50, s[24:27], 0 offen       // 000000008578: E05C1000 80864032
	v_mfma_f32_16x16x32_fp8_fp8 v[56:59], a[82:83], a[10:11], v[56:59]// 000000008580: D3F30038 1CE21552
	v_mfma_f32_16x16x32_fp8_fp8 v[56:59], a[84:85], a[12:13], v[56:59]// 000000008588: D3F30038 1CE21954
	v_mfma_f32_16x16x32_fp8_fp8 v[56:59], a[86:87], a[14:15], v[56:59]// 000000008590: D3F30038 1CE21D56
	v_mfma_f32_16x16x32_fp8_fp8 v[68:71], a[88:89], a[8:9], v[68:71]// 000000008598: D3F30044 1D121158
	buffer_load_dwordx4 a[68:71], v50, s[24:27], 0 offen offset:1024// 0000000085A0: E05C1400 80864432
	v_mfma_f32_16x16x32_fp8_fp8 v[68:71], a[90:91], a[10:11], v[68:71]// 0000000085A8: D3F30044 1D12155A
	v_mfma_f32_16x16x32_fp8_fp8 v[68:71], a[92:93], a[12:13], v[68:71]// 0000000085B0: D3F30044 1D12195C
	v_mfma_f32_16x16x32_fp8_fp8 v[68:71], a[94:95], a[14:15], v[68:71]// 0000000085B8: D3F30044 1D121D5E
	v_mfma_f32_16x16x32_fp8_fp8 v[80:83], a[96:97], a[8:9], v[80:83]// 0000000085C0: D3F30050 1D421160
	buffer_load_dwordx4 a[72:75], v51, s[24:27], 0 offen       // 0000000085C8: E05C1000 80864833
	v_mfma_f32_16x16x32_fp8_fp8 v[80:83], a[98:99], a[10:11], v[80:83]// 0000000085D0: D3F30050 1D421562
	v_mfma_f32_16x16x32_fp8_fp8 v[80:83], a[100:101], a[12:13], v[80:83]// 0000000085D8: D3F30050 1D421964
	v_mfma_f32_16x16x32_fp8_fp8 v[80:83], a[102:103], a[14:15], v[80:83]// 0000000085E0: D3F30050 1D421D66
	v_mfma_f32_16x16x32_fp8_fp8 v[92:95], a[104:105], a[8:9], v[92:95]// 0000000085E8: D3F3005C 1D721168
	buffer_load_dwordx4 a[76:79], v51, s[24:27], 0 offen offset:1024// 0000000085F0: E05C1400 80864C33
	buffer_load_dword v42, s[20:23], 0 offen lds               // 0000000085F8: E0511000 8005002A
	s_add_u32 m0, 0x100, s49                                   // 000000008600: 807C31FF 00000100
	v_mfma_f32_16x16x32_fp8_fp8 v[92:95], a[106:107], a[10:11], v[92:95]// 000000008608: D3F3005C 1D72156A
	v_mfma_f32_16x16x32_fp8_fp8 v[92:95], a[108:109], a[12:13], v[92:95]// 000000008610: D3F3005C 1D72196C
	buffer_load_dword v43, s[20:23], 0 offen lds               // 000000008618: E0511000 8005002B
	s_add_u32 m0, 0x200, s49                                   // 000000008620: 807C31FF 00000200
	v_mfma_f32_16x16x32_fp8_fp8 v[92:95], a[110:111], a[14:15], v[92:95]// 000000008628: D3F3005C 1D721D6E
	v_mfma_f32_16x16x32_fp8_fp8 v[60:63], a[80:81], a[16:17], v[60:63]// 000000008630: D3F3003C 1CF22150
	buffer_load_dword v44, s[20:23], 0 offen lds               // 000000008638: E0511000 8005002C
	s_add_u32 m0, 0x300, s49                                   // 000000008640: 807C31FF 00000300
	v_mfma_f32_16x16x32_fp8_fp8 v[60:63], a[82:83], a[18:19], v[60:63]// 000000008648: D3F3003C 1CF22552
	v_mfma_f32_16x16x32_fp8_fp8 v[60:63], a[84:85], a[20:21], v[60:63]// 000000008650: D3F3003C 1CF22954
	buffer_load_dword v45, s[20:23], 0 offen lds               // 000000008658: E0511000 8005002D
	s_add_u32 m0, 0x400, s49                                   // 000000008660: 807C31FF 00000400
	v_mfma_f32_16x16x32_fp8_fp8 v[60:63], a[86:87], a[22:23], v[60:63]// 000000008668: D3F3003C 1CF22D56
	v_mfma_f32_16x16x32_fp8_fp8 v[72:75], a[88:89], a[16:17], v[72:75]// 000000008670: D3F30048 1D222158
	buffer_load_dword v46, s[20:23], 0 offen lds               // 000000008678: E0511000 8005002E
	s_add_u32 m0, 0x500, s49                                   // 000000008680: 807C31FF 00000500
	v_mfma_f32_16x16x32_fp8_fp8 v[72:75], a[90:91], a[18:19], v[72:75]// 000000008688: D3F30048 1D22255A
	v_mfma_f32_16x16x32_fp8_fp8 v[72:75], a[92:93], a[20:21], v[72:75]// 000000008690: D3F30048 1D22295C
	buffer_load_dword v47, s[20:23], 0 offen lds               // 000000008698: E0511000 8005002F
	s_add_u32 m0, 0, s50                                       // 0000000086A0: 807C3280
	v_mfma_f32_16x16x32_fp8_fp8 v[72:75], a[94:95], a[22:23], v[72:75]// 0000000086A4: D3F30048 1D222D5E
	v_mfma_f32_16x16x32_fp8_fp8 v[84:87], a[96:97], a[16:17], v[84:87]// 0000000086AC: D3F30054 1D522160
	v_mfma_f32_16x16x32_fp8_fp8 v[84:87], a[98:99], a[18:19], v[84:87]// 0000000086B4: D3F30054 1D522562
	v_mfma_f32_16x16x32_fp8_fp8 v[84:87], a[100:101], a[20:21], v[84:87]// 0000000086BC: D3F30054 1D522964
	v_mfma_f32_16x16x32_fp8_fp8 v[84:87], a[102:103], a[22:23], v[84:87]// 0000000086C4: D3F30054 1D522D66
	v_mfma_f32_16x16x32_fp8_fp8 v[96:99], a[104:105], a[16:17], v[96:99]// 0000000086CC: D3F30060 1D822168
	v_mfma_f32_16x16x32_fp8_fp8 v[96:99], a[106:107], a[18:19], v[96:99]// 0000000086D4: D3F30060 1D82256A
	v_mfma_f32_16x16x32_fp8_fp8 v[96:99], a[108:109], a[20:21], v[96:99]// 0000000086DC: D3F30060 1D82296C
	v_mfma_f32_16x16x32_fp8_fp8 v[96:99], a[110:111], a[22:23], v[96:99]// 0000000086E4: D3F30060 1D822D6E
	s_waitcnt vmcnt(14)                                        // 0000000086EC: BF8C0F7E
	s_barrier                                                  // 0000000086F0: BF8A0000
	v_mfma_f32_16x16x32_fp8_fp8 v[100:103], a[112:113], a[0:1], v[100:103]// 0000000086F4: D3F30064 1D920170
	buffer_load_dwordx4 a[80:83], v48, s[84:87], 0 offen       // 0000000086FC: E05C1000 80955030
	v_mfma_f32_16x16x32_fp8_fp8 v[100:103], a[114:115], a[2:3], v[100:103]// 000000008704: D3F30064 1D920572
	v_mfma_f32_16x16x32_fp8_fp8 v[100:103], a[116:117], a[4:5], v[100:103]// 00000000870C: D3F30064 1D920974
	ds_read_b128 a[24:27], v2                                  // 000000008714: DBFE0000 18000002
	ds_read_b128 a[28:31], v2 offset:64                        // 00000000871C: DBFE0040 1C000002
	v_mfma_f32_16x16x32_fp8_fp8 v[100:103], a[118:119], a[6:7], v[100:103]// 000000008724: D3F30064 1D920D76
	v_mfma_f32_16x16x32_fp8_fp8 v[112:115], a[120:121], a[0:1], v[112:115]// 00000000872C: D3F30070 1DC20178
	buffer_load_dwordx4 a[84:87], v48, s[84:87], 0 offen offset:1024// 000000008734: E05C1400 80955430
	v_mfma_f32_16x16x32_fp8_fp8 v[112:115], a[122:123], a[2:3], v[112:115]// 00000000873C: D3F30070 1DC2057A
	v_mfma_f32_16x16x32_fp8_fp8 v[112:115], a[124:125], a[4:5], v[112:115]// 000000008744: D3F30070 1DC2097C
	ds_read_b128 a[32:35], v2 offset:512                       // 00000000874C: DBFE0200 20000002
	ds_read_b128 a[36:39], v2 offset:576                       // 000000008754: DBFE0240 24000002
	v_mfma_f32_16x16x32_fp8_fp8 v[112:115], a[126:127], a[6:7], v[112:115]// 00000000875C: D3F30070 1DC20D7E
	v_mfma_f32_16x16x32_fp8_fp8 v[124:127], a[128:129], a[0:1], v[124:127]// 000000008764: D3F3007C 1DF20180
	buffer_load_dwordx4 a[88:91], v49, s[84:87], 0 offen       // 00000000876C: E05C1000 80955831
	v_mfma_f32_16x16x32_fp8_fp8 v[124:127], a[130:131], a[2:3], v[124:127]// 000000008774: D3F3007C 1DF20582
	v_mfma_f32_16x16x32_fp8_fp8 v[124:127], a[132:133], a[4:5], v[124:127]// 00000000877C: D3F3007C 1DF20984
	ds_read_b128 a[40:43], v2 offset:1024                      // 000000008784: DBFE0400 28000002
	ds_read_b128 a[44:47], v2 offset:1088                      // 00000000878C: DBFE0440 2C000002
	v_mfma_f32_16x16x32_fp8_fp8 v[124:127], a[134:135], a[6:7], v[124:127]// 000000008794: D3F3007C 1DF20D86
	v_mfma_f32_16x16x32_fp8_fp8 v[136:139], a[136:137], a[0:1], v[136:139]// 00000000879C: D3F30088 1E220188
	buffer_load_dwordx4 a[92:95], v49, s[84:87], 0 offen offset:1024// 0000000087A4: E05C1400 80955C31
	v_mfma_f32_16x16x32_fp8_fp8 v[136:139], a[138:139], a[2:3], v[136:139]// 0000000087AC: D3F30088 1E22058A
	v_mfma_f32_16x16x32_fp8_fp8 v[136:139], a[140:141], a[4:5], v[136:139]// 0000000087B4: D3F30088 1E22098C
	v_mfma_f32_16x16x32_fp8_fp8 v[136:139], a[142:143], a[6:7], v[136:139]// 0000000087BC: D3F30088 1E220D8E
	v_mfma_f32_16x16x32_fp8_fp8 v[104:107], a[112:113], a[8:9], v[104:107]// 0000000087C4: D3F30068 1DA21170
	buffer_load_dwordx4 a[96:99], v50, s[84:87], 0 offen       // 0000000087CC: E05C1000 80956032
	v_mfma_f32_16x16x32_fp8_fp8 v[104:107], a[114:115], a[10:11], v[104:107]// 0000000087D4: D3F30068 1DA21572
	v_mfma_f32_16x16x32_fp8_fp8 v[104:107], a[116:117], a[12:13], v[104:107]// 0000000087DC: D3F30068 1DA21974
	v_mfma_f32_16x16x32_fp8_fp8 v[104:107], a[118:119], a[14:15], v[104:107]// 0000000087E4: D3F30068 1DA21D76
	v_mfma_f32_16x16x32_fp8_fp8 v[116:119], a[120:121], a[8:9], v[116:119]// 0000000087EC: D3F30074 1DD21178
	buffer_load_dwordx4 a[100:103], v50, s[84:87], 0 offen offset:1024// 0000000087F4: E05C1400 80956432
	v_mfma_f32_16x16x32_fp8_fp8 v[116:119], a[122:123], a[10:11], v[116:119]// 0000000087FC: D3F30074 1DD2157A
	v_mfma_f32_16x16x32_fp8_fp8 v[116:119], a[124:125], a[12:13], v[116:119]// 000000008804: D3F30074 1DD2197C
	v_mfma_f32_16x16x32_fp8_fp8 v[116:119], a[126:127], a[14:15], v[116:119]// 00000000880C: D3F30074 1DD21D7E
	v_mfma_f32_16x16x32_fp8_fp8 v[128:131], a[128:129], a[8:9], v[128:131]// 000000008814: D3F30080 1E021180
	buffer_load_dwordx4 a[104:107], v51, s[84:87], 0 offen     // 00000000881C: E05C1000 80956833
	v_mfma_f32_16x16x32_fp8_fp8 v[128:131], a[130:131], a[10:11], v[128:131]// 000000008824: D3F30080 1E021582
	v_mfma_f32_16x16x32_fp8_fp8 v[128:131], a[132:133], a[12:13], v[128:131]// 00000000882C: D3F30080 1E021984
	v_mfma_f32_16x16x32_fp8_fp8 v[128:131], a[134:135], a[14:15], v[128:131]// 000000008834: D3F30080 1E021D86
	v_mfma_f32_16x16x32_fp8_fp8 v[140:143], a[136:137], a[8:9], v[140:143]// 00000000883C: D3F3008C 1E321188
	buffer_load_dwordx4 a[108:111], v51, s[84:87], 0 offen offset:1024// 000000008844: E05C1400 80956C33
	v_mfma_f32_16x16x32_fp8_fp8 v[140:143], a[138:139], a[10:11], v[140:143]// 00000000884C: D3F3008C 1E32158A
	v_mfma_f32_16x16x32_fp8_fp8 v[140:143], a[140:141], a[12:13], v[140:143]// 000000008854: D3F3008C 1E32198C
	v_mfma_f32_16x16x32_fp8_fp8 v[140:143], a[142:143], a[14:15], v[140:143]// 00000000885C: D3F3008C 1E321D8E
	v_mfma_f32_16x16x32_fp8_fp8 v[108:111], a[112:113], a[16:17], v[108:111]// 000000008864: D3F3006C 1DB22170
	v_mfma_f32_16x16x32_fp8_fp8 v[108:111], a[114:115], a[18:19], v[108:111]// 00000000886C: D3F3006C 1DB22572
	v_mfma_f32_16x16x32_fp8_fp8 v[108:111], a[116:117], a[20:21], v[108:111]// 000000008874: D3F3006C 1DB22974
	v_mfma_f32_16x16x32_fp8_fp8 v[108:111], a[118:119], a[22:23], v[108:111]// 00000000887C: D3F3006C 1DB22D76
	v_mfma_f32_16x16x32_fp8_fp8 v[120:123], a[120:121], a[16:17], v[120:123]// 000000008884: D3F30078 1DE22178
	v_mfma_f32_16x16x32_fp8_fp8 v[120:123], a[122:123], a[18:19], v[120:123]// 00000000888C: D3F30078 1DE2257A
	v_mfma_f32_16x16x32_fp8_fp8 v[120:123], a[124:125], a[20:21], v[120:123]// 000000008894: D3F30078 1DE2297C
	v_mfma_f32_16x16x32_fp8_fp8 v[120:123], a[126:127], a[22:23], v[120:123]// 00000000889C: D3F30078 1DE22D7E
	v_mfma_f32_16x16x32_fp8_fp8 v[132:135], a[128:129], a[16:17], v[132:135]// 0000000088A4: D3F30084 1E122180
	s_add_u32 s60, 0x180, s80                                  // 0000000088AC: 803C50FF 00000180
	s_cmp_lt_u32 s60, s81                                      // 0000000088B4: BF0A513C
	s_cselect_b32 s57, s57, 0                                  // 0000000088B8: 85398039
	v_mfma_f32_16x16x32_fp8_fp8 v[132:135], a[130:131], a[18:19], v[132:135]// 0000000088BC: D3F30084 1E122582
	s_add_u32 s60, 0x100, s80                                  // 0000000088C4: 803C50FF 00000100
	s_cmp_lt_u32 s60, s81                                      // 0000000088CC: BF0A513C
	s_cselect_b32 s58, s58, 0                                  // 0000000088D0: 853A803A
	v_mfma_f32_16x16x32_fp8_fp8 v[132:135], a[132:133], a[20:21], v[132:135]// 0000000088D4: D3F30084 1E122984
	s_add_u32 s60, 0x100, s80                                  // 0000000088DC: 803C50FF 00000100
	s_cmp_lt_u32 s60, s81                                      // 0000000088E4: BF0A513C
	s_cselect_b32 s83, s83, 0                                  // 0000000088E8: 85538053
	v_mfma_f32_16x16x32_fp8_fp8 v[132:135], a[134:135], a[22:23], v[132:135]// 0000000088EC: D3F30084 1E122D86
	s_add_u32 s24, s58, s24                                    // 0000000088F4: 8018183A
	s_addc_u32 s25, 0, s25                                     // 0000000088F8: 82191980
	v_mfma_f32_16x16x32_fp8_fp8 v[144:147], a[136:137], a[16:17], v[144:147]// 0000000088FC: D3F30090 1E422188
	s_add_u32 s20, s57, s20                                    // 000000008904: 80141439
	s_addc_u32 s21, 0, s21                                     // 000000008908: 82151580
	v_mfma_f32_16x16x32_fp8_fp8 v[144:147], a[138:139], a[18:19], v[144:147]// 00000000890C: D3F30090 1E42258A
	s_add_u32 s84, s83, s84                                    // 000000008914: 80545453
	s_addc_u32 s85, 0, s85                                     // 000000008918: 82555580
	v_mfma_f32_16x16x32_fp8_fp8 v[144:147], a[140:141], a[20:21], v[144:147]// 00000000891C: D3F30090 1E42298C
	v_mfma_f32_16x16x32_fp8_fp8 v[144:147], a[142:143], a[22:23], v[144:147]// 000000008924: D3F30090 1E422D8E
	s_addk_i32 s80, 0x80                                       // 00000000892C: B7500080
	s_cmp_lt_i32 s80, s81                                      // 000000008930: BF045150
	s_cbranch_scc0 label_1B23                                  // 000000008934: BF840352
	s_waitcnt vmcnt(14) lgkmcnt(0)                             // 000000008938: BF8C007E
	v_mfma_f32_16x16x32_fp8_fp8 v[52:55], a[48:49], a[24:25], v[52:55]// 00000000893C: D3F30034 1CD23130
	buffer_load_dwordx4 a[112:115], v48, s[24:27], 0 offen     // 000000008944: E05C1000 80867030
	v_mfma_f32_16x16x32_fp8_fp8 v[52:55], a[50:51], a[26:27], v[52:55]// 00000000894C: D3F30034 1CD23532
	v_mfma_f32_16x16x32_fp8_fp8 v[52:55], a[52:53], a[28:29], v[52:55]// 000000008954: D3F30034 1CD23934
	v_mfma_f32_16x16x32_fp8_fp8 v[52:55], a[54:55], a[30:31], v[52:55]// 00000000895C: D3F30034 1CD23D36
	v_mfma_f32_16x16x32_fp8_fp8 v[64:67], a[56:57], a[24:25], v[64:67]// 000000008964: D3F30040 1D023138
	buffer_load_dwordx4 a[116:119], v48, s[24:27], 0 offen offset:1024// 00000000896C: E05C1400 80867430
	v_mfma_f32_16x16x32_fp8_fp8 v[64:67], a[58:59], a[26:27], v[64:67]// 000000008974: D3F30040 1D02353A
	v_mfma_f32_16x16x32_fp8_fp8 v[64:67], a[60:61], a[28:29], v[64:67]// 00000000897C: D3F30040 1D02393C
	v_mfma_f32_16x16x32_fp8_fp8 v[64:67], a[62:63], a[30:31], v[64:67]// 000000008984: D3F30040 1D023D3E
	v_mfma_f32_16x16x32_fp8_fp8 v[76:79], a[64:65], a[24:25], v[76:79]// 00000000898C: D3F3004C 1D323140
	buffer_load_dwordx4 a[120:123], v49, s[24:27], 0 offen     // 000000008994: E05C1000 80867831
	v_mfma_f32_16x16x32_fp8_fp8 v[76:79], a[66:67], a[26:27], v[76:79]// 00000000899C: D3F3004C 1D323542
	v_mfma_f32_16x16x32_fp8_fp8 v[76:79], a[68:69], a[28:29], v[76:79]// 0000000089A4: D3F3004C 1D323944
	v_mfma_f32_16x16x32_fp8_fp8 v[76:79], a[70:71], a[30:31], v[76:79]// 0000000089AC: D3F3004C 1D323D46
	v_mfma_f32_16x16x32_fp8_fp8 v[88:91], a[72:73], a[24:25], v[88:91]// 0000000089B4: D3F30058 1D623148
	buffer_load_dwordx4 a[124:127], v49, s[24:27], 0 offen offset:1024// 0000000089BC: E05C1400 80867C31
	v_mfma_f32_16x16x32_fp8_fp8 v[88:91], a[74:75], a[26:27], v[88:91]// 0000000089C4: D3F30058 1D62354A
	v_mfma_f32_16x16x32_fp8_fp8 v[88:91], a[76:77], a[28:29], v[88:91]// 0000000089CC: D3F30058 1D62394C
	v_mfma_f32_16x16x32_fp8_fp8 v[88:91], a[78:79], a[30:31], v[88:91]// 0000000089D4: D3F30058 1D623D4E
	v_mfma_f32_16x16x32_fp8_fp8 v[56:59], a[48:49], a[32:33], v[56:59]// 0000000089DC: D3F30038 1CE24130
	buffer_load_dwordx4 a[128:131], v50, s[24:27], 0 offen     // 0000000089E4: E05C1000 80868032
	v_mfma_f32_16x16x32_fp8_fp8 v[56:59], a[50:51], a[34:35], v[56:59]// 0000000089EC: D3F30038 1CE24532
	v_mfma_f32_16x16x32_fp8_fp8 v[56:59], a[52:53], a[36:37], v[56:59]// 0000000089F4: D3F30038 1CE24934
	v_mfma_f32_16x16x32_fp8_fp8 v[56:59], a[54:55], a[38:39], v[56:59]// 0000000089FC: D3F30038 1CE24D36
	v_mfma_f32_16x16x32_fp8_fp8 v[68:71], a[56:57], a[32:33], v[68:71]// 000000008A04: D3F30044 1D124138
	buffer_load_dwordx4 a[132:135], v50, s[24:27], 0 offen offset:1024// 000000008A0C: E05C1400 80868432
	v_mfma_f32_16x16x32_fp8_fp8 v[68:71], a[58:59], a[34:35], v[68:71]// 000000008A14: D3F30044 1D12453A
	v_mfma_f32_16x16x32_fp8_fp8 v[68:71], a[60:61], a[36:37], v[68:71]// 000000008A1C: D3F30044 1D12493C
	v_mfma_f32_16x16x32_fp8_fp8 v[68:71], a[62:63], a[38:39], v[68:71]// 000000008A24: D3F30044 1D124D3E
	v_mfma_f32_16x16x32_fp8_fp8 v[80:83], a[64:65], a[32:33], v[80:83]// 000000008A2C: D3F30050 1D424140
	buffer_load_dwordx4 a[136:139], v51, s[24:27], 0 offen     // 000000008A34: E05C1000 80868833
	v_mfma_f32_16x16x32_fp8_fp8 v[80:83], a[66:67], a[34:35], v[80:83]// 000000008A3C: D3F30050 1D424542
	v_mfma_f32_16x16x32_fp8_fp8 v[80:83], a[68:69], a[36:37], v[80:83]// 000000008A44: D3F30050 1D424944
	v_mfma_f32_16x16x32_fp8_fp8 v[80:83], a[70:71], a[38:39], v[80:83]// 000000008A4C: D3F30050 1D424D46
	v_mfma_f32_16x16x32_fp8_fp8 v[92:95], a[72:73], a[32:33], v[92:95]// 000000008A54: D3F3005C 1D724148
	buffer_load_dwordx4 a[140:143], v51, s[24:27], 0 offen offset:1024// 000000008A5C: E05C1400 80868C33
	buffer_load_dword v42, s[20:23], 0 offen lds               // 000000008A64: E0511000 8005002A
	s_add_u32 m0, 0x100, s50                                   // 000000008A6C: 807C32FF 00000100
	v_mfma_f32_16x16x32_fp8_fp8 v[92:95], a[74:75], a[34:35], v[92:95]// 000000008A74: D3F3005C 1D72454A
	v_mfma_f32_16x16x32_fp8_fp8 v[92:95], a[76:77], a[36:37], v[92:95]// 000000008A7C: D3F3005C 1D72494C
	buffer_load_dword v43, s[20:23], 0 offen lds               // 000000008A84: E0511000 8005002B
	s_add_u32 m0, 0x200, s50                                   // 000000008A8C: 807C32FF 00000200
	v_mfma_f32_16x16x32_fp8_fp8 v[92:95], a[78:79], a[38:39], v[92:95]// 000000008A94: D3F3005C 1D724D4E
	v_mfma_f32_16x16x32_fp8_fp8 v[60:63], a[48:49], a[40:41], v[60:63]// 000000008A9C: D3F3003C 1CF25130
	buffer_load_dword v44, s[20:23], 0 offen lds               // 000000008AA4: E0511000 8005002C
	s_add_u32 m0, 0x300, s50                                   // 000000008AAC: 807C32FF 00000300
	v_mfma_f32_16x16x32_fp8_fp8 v[60:63], a[50:51], a[42:43], v[60:63]// 000000008AB4: D3F3003C 1CF25532
	v_mfma_f32_16x16x32_fp8_fp8 v[60:63], a[52:53], a[44:45], v[60:63]// 000000008ABC: D3F3003C 1CF25934
	buffer_load_dword v45, s[20:23], 0 offen lds               // 000000008AC4: E0511000 8005002D
	s_add_u32 m0, 0x400, s50                                   // 000000008ACC: 807C32FF 00000400
	v_mfma_f32_16x16x32_fp8_fp8 v[60:63], a[54:55], a[46:47], v[60:63]// 000000008AD4: D3F3003C 1CF25D36
	v_mfma_f32_16x16x32_fp8_fp8 v[72:75], a[56:57], a[40:41], v[72:75]// 000000008ADC: D3F30048 1D225138
	buffer_load_dword v46, s[20:23], 0 offen lds               // 000000008AE4: E0511000 8005002E
	s_add_u32 m0, 0x500, s50                                   // 000000008AEC: 807C32FF 00000500
	v_mfma_f32_16x16x32_fp8_fp8 v[72:75], a[58:59], a[42:43], v[72:75]// 000000008AF4: D3F30048 1D22553A
	v_mfma_f32_16x16x32_fp8_fp8 v[72:75], a[60:61], a[44:45], v[72:75]// 000000008AFC: D3F30048 1D22593C
	buffer_load_dword v47, s[20:23], 0 offen lds               // 000000008B04: E0511000 8005002F
	s_add_u32 m0, 0, s48                                       // 000000008B0C: 807C3080
	v_mfma_f32_16x16x32_fp8_fp8 v[72:75], a[62:63], a[46:47], v[72:75]// 000000008B10: D3F30048 1D225D3E
	v_mfma_f32_16x16x32_fp8_fp8 v[84:87], a[64:65], a[40:41], v[84:87]// 000000008B18: D3F30054 1D525140
	v_mfma_f32_16x16x32_fp8_fp8 v[84:87], a[66:67], a[42:43], v[84:87]// 000000008B20: D3F30054 1D525542
	v_mfma_f32_16x16x32_fp8_fp8 v[84:87], a[68:69], a[44:45], v[84:87]// 000000008B28: D3F30054 1D525944
	v_mfma_f32_16x16x32_fp8_fp8 v[84:87], a[70:71], a[46:47], v[84:87]// 000000008B30: D3F30054 1D525D46
	v_mfma_f32_16x16x32_fp8_fp8 v[96:99], a[72:73], a[40:41], v[96:99]// 000000008B38: D3F30060 1D825148
	v_mfma_f32_16x16x32_fp8_fp8 v[96:99], a[74:75], a[42:43], v[96:99]// 000000008B40: D3F30060 1D82554A
	v_mfma_f32_16x16x32_fp8_fp8 v[96:99], a[76:77], a[44:45], v[96:99]// 000000008B48: D3F30060 1D82594C
	v_mfma_f32_16x16x32_fp8_fp8 v[96:99], a[78:79], a[46:47], v[96:99]// 000000008B50: D3F30060 1D825D4E
	s_waitcnt vmcnt(14)                                        // 000000008B58: BF8C0F7E
	s_barrier                                                  // 000000008B5C: BF8A0000
	v_mfma_f32_16x16x32_fp8_fp8 v[100:103], a[80:81], a[24:25], v[100:103]// 000000008B60: D3F30064 1D923150
	buffer_load_dwordx4 a[48:51], v48, s[84:87], 0 offen       // 000000008B68: E05C1000 80953030
	v_mfma_f32_16x16x32_fp8_fp8 v[100:103], a[82:83], a[26:27], v[100:103]// 000000008B70: D3F30064 1D923552
	v_mfma_f32_16x16x32_fp8_fp8 v[100:103], a[84:85], a[28:29], v[100:103]// 000000008B78: D3F30064 1D923954
	ds_read_b128 a[0:3], v2 offset:6272                        // 000000008B80: DBFE1880 00000002
	ds_read_b128 a[4:7], v2 offset:6336                        // 000000008B88: DBFE18C0 04000002
	v_mfma_f32_16x16x32_fp8_fp8 v[100:103], a[86:87], a[30:31], v[100:103]// 000000008B90: D3F30064 1D923D56
	v_mfma_f32_16x16x32_fp8_fp8 v[112:115], a[88:89], a[24:25], v[112:115]// 000000008B98: D3F30070 1DC23158
	buffer_load_dwordx4 a[52:55], v48, s[84:87], 0 offen offset:1024// 000000008BA0: E05C1400 80953430
	v_mfma_f32_16x16x32_fp8_fp8 v[112:115], a[90:91], a[26:27], v[112:115]// 000000008BA8: D3F30070 1DC2355A
	v_mfma_f32_16x16x32_fp8_fp8 v[112:115], a[92:93], a[28:29], v[112:115]// 000000008BB0: D3F30070 1DC2395C
	ds_read_b128 a[8:11], v2 offset:6784                       // 000000008BB8: DBFE1A80 08000002
	ds_read_b128 a[12:15], v2 offset:6848                      // 000000008BC0: DBFE1AC0 0C000002
	v_mfma_f32_16x16x32_fp8_fp8 v[112:115], a[94:95], a[30:31], v[112:115]// 000000008BC8: D3F30070 1DC23D5E
	v_mfma_f32_16x16x32_fp8_fp8 v[124:127], a[96:97], a[24:25], v[124:127]// 000000008BD0: D3F3007C 1DF23160
	buffer_load_dwordx4 a[56:59], v49, s[84:87], 0 offen       // 000000008BD8: E05C1000 80953831
	v_mfma_f32_16x16x32_fp8_fp8 v[124:127], a[98:99], a[26:27], v[124:127]// 000000008BE0: D3F3007C 1DF23562
	v_mfma_f32_16x16x32_fp8_fp8 v[124:127], a[100:101], a[28:29], v[124:127]// 000000008BE8: D3F3007C 1DF23964
	ds_read_b128 a[16:19], v2 offset:7296                      // 000000008BF0: DBFE1C80 10000002
	ds_read_b128 a[20:23], v2 offset:7360                      // 000000008BF8: DBFE1CC0 14000002
	v_mfma_f32_16x16x32_fp8_fp8 v[124:127], a[102:103], a[30:31], v[124:127]// 000000008C00: D3F3007C 1DF23D66
	v_mfma_f32_16x16x32_fp8_fp8 v[136:139], a[104:105], a[24:25], v[136:139]// 000000008C08: D3F30088 1E223168
	buffer_load_dwordx4 a[60:63], v49, s[84:87], 0 offen offset:1024// 000000008C10: E05C1400 80953C31
	v_mfma_f32_16x16x32_fp8_fp8 v[136:139], a[106:107], a[26:27], v[136:139]// 000000008C18: D3F30088 1E22356A
	v_mfma_f32_16x16x32_fp8_fp8 v[136:139], a[108:109], a[28:29], v[136:139]// 000000008C20: D3F30088 1E22396C
	v_mfma_f32_16x16x32_fp8_fp8 v[136:139], a[110:111], a[30:31], v[136:139]// 000000008C28: D3F30088 1E223D6E
	v_mfma_f32_16x16x32_fp8_fp8 v[104:107], a[80:81], a[32:33], v[104:107]// 000000008C30: D3F30068 1DA24150
	buffer_load_dwordx4 a[64:67], v50, s[84:87], 0 offen       // 000000008C38: E05C1000 80954032
	v_mfma_f32_16x16x32_fp8_fp8 v[104:107], a[82:83], a[34:35], v[104:107]// 000000008C40: D3F30068 1DA24552
	v_mfma_f32_16x16x32_fp8_fp8 v[104:107], a[84:85], a[36:37], v[104:107]// 000000008C48: D3F30068 1DA24954
	v_mfma_f32_16x16x32_fp8_fp8 v[104:107], a[86:87], a[38:39], v[104:107]// 000000008C50: D3F30068 1DA24D56
	v_mfma_f32_16x16x32_fp8_fp8 v[116:119], a[88:89], a[32:33], v[116:119]// 000000008C58: D3F30074 1DD24158
	buffer_load_dwordx4 a[68:71], v50, s[84:87], 0 offen offset:1024// 000000008C60: E05C1400 80954432
	v_mfma_f32_16x16x32_fp8_fp8 v[116:119], a[90:91], a[34:35], v[116:119]// 000000008C68: D3F30074 1DD2455A
	v_mfma_f32_16x16x32_fp8_fp8 v[116:119], a[92:93], a[36:37], v[116:119]// 000000008C70: D3F30074 1DD2495C
	v_mfma_f32_16x16x32_fp8_fp8 v[116:119], a[94:95], a[38:39], v[116:119]// 000000008C78: D3F30074 1DD24D5E
	v_mfma_f32_16x16x32_fp8_fp8 v[128:131], a[96:97], a[32:33], v[128:131]// 000000008C80: D3F30080 1E024160
	buffer_load_dwordx4 a[72:75], v51, s[84:87], 0 offen       // 000000008C88: E05C1000 80954833
	v_mfma_f32_16x16x32_fp8_fp8 v[128:131], a[98:99], a[34:35], v[128:131]// 000000008C90: D3F30080 1E024562
	v_mfma_f32_16x16x32_fp8_fp8 v[128:131], a[100:101], a[36:37], v[128:131]// 000000008C98: D3F30080 1E024964
	v_mfma_f32_16x16x32_fp8_fp8 v[128:131], a[102:103], a[38:39], v[128:131]// 000000008CA0: D3F30080 1E024D66
	v_mfma_f32_16x16x32_fp8_fp8 v[140:143], a[104:105], a[32:33], v[140:143]// 000000008CA8: D3F3008C 1E324168
	buffer_load_dwordx4 a[76:79], v51, s[84:87], 0 offen offset:1024// 000000008CB0: E05C1400 80954C33
	v_mfma_f32_16x16x32_fp8_fp8 v[140:143], a[106:107], a[34:35], v[140:143]// 000000008CB8: D3F3008C 1E32456A
	v_mfma_f32_16x16x32_fp8_fp8 v[140:143], a[108:109], a[36:37], v[140:143]// 000000008CC0: D3F3008C 1E32496C
	v_mfma_f32_16x16x32_fp8_fp8 v[140:143], a[110:111], a[38:39], v[140:143]// 000000008CC8: D3F3008C 1E324D6E
	v_mfma_f32_16x16x32_fp8_fp8 v[108:111], a[80:81], a[40:41], v[108:111]// 000000008CD0: D3F3006C 1DB25150
	v_mfma_f32_16x16x32_fp8_fp8 v[108:111], a[82:83], a[42:43], v[108:111]// 000000008CD8: D3F3006C 1DB25552
	v_mfma_f32_16x16x32_fp8_fp8 v[108:111], a[84:85], a[44:45], v[108:111]// 000000008CE0: D3F3006C 1DB25954
	v_mfma_f32_16x16x32_fp8_fp8 v[108:111], a[86:87], a[46:47], v[108:111]// 000000008CE8: D3F3006C 1DB25D56
	v_mfma_f32_16x16x32_fp8_fp8 v[120:123], a[88:89], a[40:41], v[120:123]// 000000008CF0: D3F30078 1DE25158
	v_mfma_f32_16x16x32_fp8_fp8 v[120:123], a[90:91], a[42:43], v[120:123]// 000000008CF8: D3F30078 1DE2555A
	v_mfma_f32_16x16x32_fp8_fp8 v[120:123], a[92:93], a[44:45], v[120:123]// 000000008D00: D3F30078 1DE2595C
	v_mfma_f32_16x16x32_fp8_fp8 v[120:123], a[94:95], a[46:47], v[120:123]// 000000008D08: D3F30078 1DE25D5E
	v_mfma_f32_16x16x32_fp8_fp8 v[132:135], a[96:97], a[40:41], v[132:135]// 000000008D10: D3F30084 1E125160
	s_add_u32 s60, 0x180, s80                                  // 000000008D18: 803C50FF 00000180
	s_cmp_lt_u32 s60, s81                                      // 000000008D20: BF0A513C
	s_cselect_b32 s57, s57, 0                                  // 000000008D24: 85398039
	v_mfma_f32_16x16x32_fp8_fp8 v[132:135], a[98:99], a[42:43], v[132:135]// 000000008D28: D3F30084 1E125562
	s_add_u32 s60, 0x100, s80                                  // 000000008D30: 803C50FF 00000100
	s_cmp_lt_u32 s60, s81                                      // 000000008D38: BF0A513C
	s_cselect_b32 s58, s58, 0                                  // 000000008D3C: 853A803A
	v_mfma_f32_16x16x32_fp8_fp8 v[132:135], a[100:101], a[44:45], v[132:135]// 000000008D40: D3F30084 1E125964
	s_add_u32 s60, 0x100, s80                                  // 000000008D48: 803C50FF 00000100
	s_cmp_lt_u32 s60, s81                                      // 000000008D50: BF0A513C
	s_cselect_b32 s83, s83, 0                                  // 000000008D54: 85538053
	v_mfma_f32_16x16x32_fp8_fp8 v[132:135], a[102:103], a[46:47], v[132:135]// 000000008D58: D3F30084 1E125D66
	s_add_u32 s24, s58, s24                                    // 000000008D60: 8018183A
	s_addc_u32 s25, 0, s25                                     // 000000008D64: 82191980
	v_mfma_f32_16x16x32_fp8_fp8 v[144:147], a[104:105], a[40:41], v[144:147]// 000000008D68: D3F30090 1E425168
	s_add_u32 s20, s57, s20                                    // 000000008D70: 80141439
	s_addc_u32 s21, 0, s21                                     // 000000008D74: 82151580
	v_mfma_f32_16x16x32_fp8_fp8 v[144:147], a[106:107], a[42:43], v[144:147]// 000000008D78: D3F30090 1E42556A
	s_add_u32 s84, s83, s84                                    // 000000008D80: 80545453
	s_addc_u32 s85, 0, s85                                     // 000000008D84: 82555580
	v_mfma_f32_16x16x32_fp8_fp8 v[144:147], a[108:109], a[44:45], v[144:147]// 000000008D88: D3F30090 1E42596C
	v_mfma_f32_16x16x32_fp8_fp8 v[144:147], a[110:111], a[46:47], v[144:147]// 000000008D90: D3F30090 1E425D6E
	s_addk_i32 s80, 0x80                                       // 000000008D98: B7500080
	s_cmp_lt_i32 s80, s81                                      // 000000008D9C: BF045150
	s_cbranch_scc0 label_1B23                                  // 000000008DA0: BF840237
	s_waitcnt vmcnt(14) lgkmcnt(0)                             // 000000008DA4: BF8C007E
	v_mfma_f32_16x16x32_fp8_fp8 v[52:55], a[112:113], a[0:1], v[52:55]// 000000008DA8: D3F30034 1CD20170
	buffer_load_dwordx4 a[80:83], v48, s[24:27], 0 offen       // 000000008DB0: E05C1000 80865030
	v_mfma_f32_16x16x32_fp8_fp8 v[52:55], a[114:115], a[2:3], v[52:55]// 000000008DB8: D3F30034 1CD20572
	v_mfma_f32_16x16x32_fp8_fp8 v[52:55], a[116:117], a[4:5], v[52:55]// 000000008DC0: D3F30034 1CD20974
	v_mfma_f32_16x16x32_fp8_fp8 v[52:55], a[118:119], a[6:7], v[52:55]// 000000008DC8: D3F30034 1CD20D76
	v_mfma_f32_16x16x32_fp8_fp8 v[64:67], a[120:121], a[0:1], v[64:67]// 000000008DD0: D3F30040 1D020178
	buffer_load_dwordx4 a[84:87], v48, s[24:27], 0 offen offset:1024// 000000008DD8: E05C1400 80865430
	v_mfma_f32_16x16x32_fp8_fp8 v[64:67], a[122:123], a[2:3], v[64:67]// 000000008DE0: D3F30040 1D02057A
	v_mfma_f32_16x16x32_fp8_fp8 v[64:67], a[124:125], a[4:5], v[64:67]// 000000008DE8: D3F30040 1D02097C
	v_mfma_f32_16x16x32_fp8_fp8 v[64:67], a[126:127], a[6:7], v[64:67]// 000000008DF0: D3F30040 1D020D7E
	v_mfma_f32_16x16x32_fp8_fp8 v[76:79], a[128:129], a[0:1], v[76:79]// 000000008DF8: D3F3004C 1D320180
	buffer_load_dwordx4 a[88:91], v49, s[24:27], 0 offen       // 000000008E00: E05C1000 80865831
	v_mfma_f32_16x16x32_fp8_fp8 v[76:79], a[130:131], a[2:3], v[76:79]// 000000008E08: D3F3004C 1D320582
	v_mfma_f32_16x16x32_fp8_fp8 v[76:79], a[132:133], a[4:5], v[76:79]// 000000008E10: D3F3004C 1D320984
	v_mfma_f32_16x16x32_fp8_fp8 v[76:79], a[134:135], a[6:7], v[76:79]// 000000008E18: D3F3004C 1D320D86
	v_mfma_f32_16x16x32_fp8_fp8 v[88:91], a[136:137], a[0:1], v[88:91]// 000000008E20: D3F30058 1D620188
	buffer_load_dwordx4 a[92:95], v49, s[24:27], 0 offen offset:1024// 000000008E28: E05C1400 80865C31
	v_mfma_f32_16x16x32_fp8_fp8 v[88:91], a[138:139], a[2:3], v[88:91]// 000000008E30: D3F30058 1D62058A
	v_mfma_f32_16x16x32_fp8_fp8 v[88:91], a[140:141], a[4:5], v[88:91]// 000000008E38: D3F30058 1D62098C
	v_mfma_f32_16x16x32_fp8_fp8 v[88:91], a[142:143], a[6:7], v[88:91]// 000000008E40: D3F30058 1D620D8E
	v_mfma_f32_16x16x32_fp8_fp8 v[56:59], a[112:113], a[8:9], v[56:59]// 000000008E48: D3F30038 1CE21170
	buffer_load_dwordx4 a[96:99], v50, s[24:27], 0 offen       // 000000008E50: E05C1000 80866032
	v_mfma_f32_16x16x32_fp8_fp8 v[56:59], a[114:115], a[10:11], v[56:59]// 000000008E58: D3F30038 1CE21572
	v_mfma_f32_16x16x32_fp8_fp8 v[56:59], a[116:117], a[12:13], v[56:59]// 000000008E60: D3F30038 1CE21974
	v_mfma_f32_16x16x32_fp8_fp8 v[56:59], a[118:119], a[14:15], v[56:59]// 000000008E68: D3F30038 1CE21D76
	v_mfma_f32_16x16x32_fp8_fp8 v[68:71], a[120:121], a[8:9], v[68:71]// 000000008E70: D3F30044 1D121178
	buffer_load_dwordx4 a[100:103], v50, s[24:27], 0 offen offset:1024// 000000008E78: E05C1400 80866432
	v_mfma_f32_16x16x32_fp8_fp8 v[68:71], a[122:123], a[10:11], v[68:71]// 000000008E80: D3F30044 1D12157A
	v_mfma_f32_16x16x32_fp8_fp8 v[68:71], a[124:125], a[12:13], v[68:71]// 000000008E88: D3F30044 1D12197C
	v_mfma_f32_16x16x32_fp8_fp8 v[68:71], a[126:127], a[14:15], v[68:71]// 000000008E90: D3F30044 1D121D7E
	v_mfma_f32_16x16x32_fp8_fp8 v[80:83], a[128:129], a[8:9], v[80:83]// 000000008E98: D3F30050 1D421180
	buffer_load_dwordx4 a[104:107], v51, s[24:27], 0 offen     // 000000008EA0: E05C1000 80866833
	v_mfma_f32_16x16x32_fp8_fp8 v[80:83], a[130:131], a[10:11], v[80:83]// 000000008EA8: D3F30050 1D421582
	v_mfma_f32_16x16x32_fp8_fp8 v[80:83], a[132:133], a[12:13], v[80:83]// 000000008EB0: D3F30050 1D421984
	v_mfma_f32_16x16x32_fp8_fp8 v[80:83], a[134:135], a[14:15], v[80:83]// 000000008EB8: D3F30050 1D421D86
	v_mfma_f32_16x16x32_fp8_fp8 v[92:95], a[136:137], a[8:9], v[92:95]// 000000008EC0: D3F3005C 1D721188
	buffer_load_dwordx4 a[108:111], v51, s[24:27], 0 offen offset:1024// 000000008EC8: E05C1400 80866C33
	buffer_load_dword v42, s[20:23], 0 offen lds               // 000000008ED0: E0511000 8005002A
	s_add_u32 m0, 0x100, s48                                   // 000000008ED8: 807C30FF 00000100
	v_mfma_f32_16x16x32_fp8_fp8 v[92:95], a[138:139], a[10:11], v[92:95]// 000000008EE0: D3F3005C 1D72158A
	v_mfma_f32_16x16x32_fp8_fp8 v[92:95], a[140:141], a[12:13], v[92:95]// 000000008EE8: D3F3005C 1D72198C
	buffer_load_dword v43, s[20:23], 0 offen lds               // 000000008EF0: E0511000 8005002B
	s_add_u32 m0, 0x200, s48                                   // 000000008EF8: 807C30FF 00000200
	v_mfma_f32_16x16x32_fp8_fp8 v[92:95], a[142:143], a[14:15], v[92:95]// 000000008F00: D3F3005C 1D721D8E
	v_mfma_f32_16x16x32_fp8_fp8 v[60:63], a[112:113], a[16:17], v[60:63]// 000000008F08: D3F3003C 1CF22170
	buffer_load_dword v44, s[20:23], 0 offen lds               // 000000008F10: E0511000 8005002C
	s_add_u32 m0, 0x300, s48                                   // 000000008F18: 807C30FF 00000300
	v_mfma_f32_16x16x32_fp8_fp8 v[60:63], a[114:115], a[18:19], v[60:63]// 000000008F20: D3F3003C 1CF22572
	v_mfma_f32_16x16x32_fp8_fp8 v[60:63], a[116:117], a[20:21], v[60:63]// 000000008F28: D3F3003C 1CF22974
	buffer_load_dword v45, s[20:23], 0 offen lds               // 000000008F30: E0511000 8005002D
	s_add_u32 m0, 0x400, s48                                   // 000000008F38: 807C30FF 00000400
	v_mfma_f32_16x16x32_fp8_fp8 v[60:63], a[118:119], a[22:23], v[60:63]// 000000008F40: D3F3003C 1CF22D76
	v_mfma_f32_16x16x32_fp8_fp8 v[72:75], a[120:121], a[16:17], v[72:75]// 000000008F48: D3F30048 1D222178
	buffer_load_dword v46, s[20:23], 0 offen lds               // 000000008F50: E0511000 8005002E
	s_add_u32 m0, 0x500, s48                                   // 000000008F58: 807C30FF 00000500
	v_mfma_f32_16x16x32_fp8_fp8 v[72:75], a[122:123], a[18:19], v[72:75]// 000000008F60: D3F30048 1D22257A
	v_mfma_f32_16x16x32_fp8_fp8 v[72:75], a[124:125], a[20:21], v[72:75]// 000000008F68: D3F30048 1D22297C
	buffer_load_dword v47, s[20:23], 0 offen lds               // 000000008F70: E0511000 8005002F
	s_add_u32 m0, 0, s49                                       // 000000008F78: 807C3180
	v_mfma_f32_16x16x32_fp8_fp8 v[72:75], a[126:127], a[22:23], v[72:75]// 000000008F7C: D3F30048 1D222D7E
	v_mfma_f32_16x16x32_fp8_fp8 v[84:87], a[128:129], a[16:17], v[84:87]// 000000008F84: D3F30054 1D522180
	v_mfma_f32_16x16x32_fp8_fp8 v[84:87], a[130:131], a[18:19], v[84:87]// 000000008F8C: D3F30054 1D522582
	v_mfma_f32_16x16x32_fp8_fp8 v[84:87], a[132:133], a[20:21], v[84:87]// 000000008F94: D3F30054 1D522984
	v_mfma_f32_16x16x32_fp8_fp8 v[84:87], a[134:135], a[22:23], v[84:87]// 000000008F9C: D3F30054 1D522D86
	v_mfma_f32_16x16x32_fp8_fp8 v[96:99], a[136:137], a[16:17], v[96:99]// 000000008FA4: D3F30060 1D822188
	v_mfma_f32_16x16x32_fp8_fp8 v[96:99], a[138:139], a[18:19], v[96:99]// 000000008FAC: D3F30060 1D82258A
	v_mfma_f32_16x16x32_fp8_fp8 v[96:99], a[140:141], a[20:21], v[96:99]// 000000008FB4: D3F30060 1D82298C
	v_mfma_f32_16x16x32_fp8_fp8 v[96:99], a[142:143], a[22:23], v[96:99]// 000000008FBC: D3F30060 1D822D8E
	s_waitcnt vmcnt(14)                                        // 000000008FC4: BF8C0F7E
	s_barrier                                                  // 000000008FC8: BF8A0000
	v_mfma_f32_16x16x32_fp8_fp8 v[100:103], a[48:49], a[0:1], v[100:103]// 000000008FCC: D3F30064 1D920130
	buffer_load_dwordx4 a[112:115], v48, s[84:87], 0 offen     // 000000008FD4: E05C1000 80957030
	v_mfma_f32_16x16x32_fp8_fp8 v[100:103], a[50:51], a[2:3], v[100:103]// 000000008FDC: D3F30064 1D920532
	v_mfma_f32_16x16x32_fp8_fp8 v[100:103], a[52:53], a[4:5], v[100:103]// 000000008FE4: D3F30064 1D920934
	ds_read_b128 a[24:27], v2 offset:12544                     // 000000008FEC: DBFE3100 18000002
	ds_read_b128 a[28:31], v2 offset:12608                     // 000000008FF4: DBFE3140 1C000002
	v_mfma_f32_16x16x32_fp8_fp8 v[100:103], a[54:55], a[6:7], v[100:103]// 000000008FFC: D3F30064 1D920D36
	v_mfma_f32_16x16x32_fp8_fp8 v[112:115], a[56:57], a[0:1], v[112:115]// 000000009004: D3F30070 1DC20138
	buffer_load_dwordx4 a[116:119], v48, s[84:87], 0 offen offset:1024// 00000000900C: E05C1400 80957430
	v_mfma_f32_16x16x32_fp8_fp8 v[112:115], a[58:59], a[2:3], v[112:115]// 000000009014: D3F30070 1DC2053A
	v_mfma_f32_16x16x32_fp8_fp8 v[112:115], a[60:61], a[4:5], v[112:115]// 00000000901C: D3F30070 1DC2093C
	ds_read_b128 a[32:35], v2 offset:13056                     // 000000009024: DBFE3300 20000002
	ds_read_b128 a[36:39], v2 offset:13120                     // 00000000902C: DBFE3340 24000002
	v_mfma_f32_16x16x32_fp8_fp8 v[112:115], a[62:63], a[6:7], v[112:115]// 000000009034: D3F30070 1DC20D3E
	v_mfma_f32_16x16x32_fp8_fp8 v[124:127], a[64:65], a[0:1], v[124:127]// 00000000903C: D3F3007C 1DF20140
	buffer_load_dwordx4 a[120:123], v49, s[84:87], 0 offen     // 000000009044: E05C1000 80957831
	v_mfma_f32_16x16x32_fp8_fp8 v[124:127], a[66:67], a[2:3], v[124:127]// 00000000904C: D3F3007C 1DF20542
	v_mfma_f32_16x16x32_fp8_fp8 v[124:127], a[68:69], a[4:5], v[124:127]// 000000009054: D3F3007C 1DF20944
	ds_read_b128 a[40:43], v2 offset:13568                     // 00000000905C: DBFE3500 28000002
	ds_read_b128 a[44:47], v2 offset:13632                     // 000000009064: DBFE3540 2C000002
	v_mfma_f32_16x16x32_fp8_fp8 v[124:127], a[70:71], a[6:7], v[124:127]// 00000000906C: D3F3007C 1DF20D46
	v_mfma_f32_16x16x32_fp8_fp8 v[136:139], a[72:73], a[0:1], v[136:139]// 000000009074: D3F30088 1E220148
	buffer_load_dwordx4 a[124:127], v49, s[84:87], 0 offen offset:1024// 00000000907C: E05C1400 80957C31
	v_mfma_f32_16x16x32_fp8_fp8 v[136:139], a[74:75], a[2:3], v[136:139]// 000000009084: D3F30088 1E22054A
	v_mfma_f32_16x16x32_fp8_fp8 v[136:139], a[76:77], a[4:5], v[136:139]// 00000000908C: D3F30088 1E22094C
	v_mfma_f32_16x16x32_fp8_fp8 v[136:139], a[78:79], a[6:7], v[136:139]// 000000009094: D3F30088 1E220D4E
	v_mfma_f32_16x16x32_fp8_fp8 v[104:107], a[48:49], a[8:9], v[104:107]// 00000000909C: D3F30068 1DA21130
	buffer_load_dwordx4 a[128:131], v50, s[84:87], 0 offen     // 0000000090A4: E05C1000 80958032
	v_mfma_f32_16x16x32_fp8_fp8 v[104:107], a[50:51], a[10:11], v[104:107]// 0000000090AC: D3F30068 1DA21532
	v_mfma_f32_16x16x32_fp8_fp8 v[104:107], a[52:53], a[12:13], v[104:107]// 0000000090B4: D3F30068 1DA21934
	v_mfma_f32_16x16x32_fp8_fp8 v[104:107], a[54:55], a[14:15], v[104:107]// 0000000090BC: D3F30068 1DA21D36
	v_mfma_f32_16x16x32_fp8_fp8 v[116:119], a[56:57], a[8:9], v[116:119]// 0000000090C4: D3F30074 1DD21138
	buffer_load_dwordx4 a[132:135], v50, s[84:87], 0 offen offset:1024// 0000000090CC: E05C1400 80958432
	v_mfma_f32_16x16x32_fp8_fp8 v[116:119], a[58:59], a[10:11], v[116:119]// 0000000090D4: D3F30074 1DD2153A
	v_mfma_f32_16x16x32_fp8_fp8 v[116:119], a[60:61], a[12:13], v[116:119]// 0000000090DC: D3F30074 1DD2193C
	v_mfma_f32_16x16x32_fp8_fp8 v[116:119], a[62:63], a[14:15], v[116:119]// 0000000090E4: D3F30074 1DD21D3E
	v_mfma_f32_16x16x32_fp8_fp8 v[128:131], a[64:65], a[8:9], v[128:131]// 0000000090EC: D3F30080 1E021140
	buffer_load_dwordx4 a[136:139], v51, s[84:87], 0 offen     // 0000000090F4: E05C1000 80958833
	v_mfma_f32_16x16x32_fp8_fp8 v[128:131], a[66:67], a[10:11], v[128:131]// 0000000090FC: D3F30080 1E021542
	v_mfma_f32_16x16x32_fp8_fp8 v[128:131], a[68:69], a[12:13], v[128:131]// 000000009104: D3F30080 1E021944
	v_mfma_f32_16x16x32_fp8_fp8 v[128:131], a[70:71], a[14:15], v[128:131]// 00000000910C: D3F30080 1E021D46
	v_mfma_f32_16x16x32_fp8_fp8 v[140:143], a[72:73], a[8:9], v[140:143]// 000000009114: D3F3008C 1E321148
	buffer_load_dwordx4 a[140:143], v51, s[84:87], 0 offen offset:1024// 00000000911C: E05C1400 80958C33
	v_mfma_f32_16x16x32_fp8_fp8 v[140:143], a[74:75], a[10:11], v[140:143]// 000000009124: D3F3008C 1E32154A
	v_mfma_f32_16x16x32_fp8_fp8 v[140:143], a[76:77], a[12:13], v[140:143]// 00000000912C: D3F3008C 1E32194C
	v_mfma_f32_16x16x32_fp8_fp8 v[140:143], a[78:79], a[14:15], v[140:143]// 000000009134: D3F3008C 1E321D4E
	v_mfma_f32_16x16x32_fp8_fp8 v[108:111], a[48:49], a[16:17], v[108:111]// 00000000913C: D3F3006C 1DB22130
	v_mfma_f32_16x16x32_fp8_fp8 v[108:111], a[50:51], a[18:19], v[108:111]// 000000009144: D3F3006C 1DB22532
	v_mfma_f32_16x16x32_fp8_fp8 v[108:111], a[52:53], a[20:21], v[108:111]// 00000000914C: D3F3006C 1DB22934
	v_mfma_f32_16x16x32_fp8_fp8 v[108:111], a[54:55], a[22:23], v[108:111]// 000000009154: D3F3006C 1DB22D36
	v_mfma_f32_16x16x32_fp8_fp8 v[120:123], a[56:57], a[16:17], v[120:123]// 00000000915C: D3F30078 1DE22138
	v_mfma_f32_16x16x32_fp8_fp8 v[120:123], a[58:59], a[18:19], v[120:123]// 000000009164: D3F30078 1DE2253A
	v_mfma_f32_16x16x32_fp8_fp8 v[120:123], a[60:61], a[20:21], v[120:123]// 00000000916C: D3F30078 1DE2293C
	v_mfma_f32_16x16x32_fp8_fp8 v[120:123], a[62:63], a[22:23], v[120:123]// 000000009174: D3F30078 1DE22D3E
	v_mfma_f32_16x16x32_fp8_fp8 v[132:135], a[64:65], a[16:17], v[132:135]// 00000000917C: D3F30084 1E122140
	s_add_u32 s60, 0x180, s80                                  // 000000009184: 803C50FF 00000180
	s_cmp_lt_u32 s60, s81                                      // 00000000918C: BF0A513C
	s_cselect_b32 s57, s57, 0                                  // 000000009190: 85398039
	v_mfma_f32_16x16x32_fp8_fp8 v[132:135], a[66:67], a[18:19], v[132:135]// 000000009194: D3F30084 1E122542
	s_add_u32 s60, 0x100, s80                                  // 00000000919C: 803C50FF 00000100
	s_cmp_lt_u32 s60, s81                                      // 0000000091A4: BF0A513C
	s_cselect_b32 s58, s58, 0                                  // 0000000091A8: 853A803A
	v_mfma_f32_16x16x32_fp8_fp8 v[132:135], a[68:69], a[20:21], v[132:135]// 0000000091AC: D3F30084 1E122944
	s_add_u32 s60, 0x100, s80                                  // 0000000091B4: 803C50FF 00000100
	s_cmp_lt_u32 s60, s81                                      // 0000000091BC: BF0A513C
	s_cselect_b32 s83, s83, 0                                  // 0000000091C0: 85538053
	v_mfma_f32_16x16x32_fp8_fp8 v[132:135], a[70:71], a[22:23], v[132:135]// 0000000091C4: D3F30084 1E122D46
	s_add_u32 s24, s58, s24                                    // 0000000091CC: 8018183A
	s_addc_u32 s25, 0, s25                                     // 0000000091D0: 82191980
	v_mfma_f32_16x16x32_fp8_fp8 v[144:147], a[72:73], a[16:17], v[144:147]// 0000000091D4: D3F30090 1E422148
	s_add_u32 s20, s57, s20                                    // 0000000091DC: 80141439
	s_addc_u32 s21, 0, s21                                     // 0000000091E0: 82151580
	v_mfma_f32_16x16x32_fp8_fp8 v[144:147], a[74:75], a[18:19], v[144:147]// 0000000091E4: D3F30090 1E42254A
	s_add_u32 s84, s83, s84                                    // 0000000091EC: 80545453
	s_addc_u32 s85, 0, s85                                     // 0000000091F0: 82555580
	v_mfma_f32_16x16x32_fp8_fp8 v[144:147], a[76:77], a[20:21], v[144:147]// 0000000091F4: D3F30090 1E42294C
	v_mfma_f32_16x16x32_fp8_fp8 v[144:147], a[78:79], a[22:23], v[144:147]// 0000000091FC: D3F30090 1E422D4E
	s_addk_i32 s80, 0x80                                       // 000000009204: B7500080
	s_cmp_lt_i32 s80, s81                                      // 000000009208: BF045150
	s_cbranch_scc0 label_1B23                                  // 00000000920C: BF84011C
	s_waitcnt vmcnt(14) lgkmcnt(0)                             // 000000009210: BF8C007E
	v_mfma_f32_16x16x32_fp8_fp8 v[52:55], a[80:81], a[24:25], v[52:55]// 000000009214: D3F30034 1CD23150
	buffer_load_dwordx4 a[48:51], v48, s[24:27], 0 offen       // 00000000921C: E05C1000 80863030
	v_mfma_f32_16x16x32_fp8_fp8 v[52:55], a[82:83], a[26:27], v[52:55]// 000000009224: D3F30034 1CD23552
	v_mfma_f32_16x16x32_fp8_fp8 v[52:55], a[84:85], a[28:29], v[52:55]// 00000000922C: D3F30034 1CD23954
	v_mfma_f32_16x16x32_fp8_fp8 v[52:55], a[86:87], a[30:31], v[52:55]// 000000009234: D3F30034 1CD23D56
	v_mfma_f32_16x16x32_fp8_fp8 v[64:67], a[88:89], a[24:25], v[64:67]// 00000000923C: D3F30040 1D023158
	buffer_load_dwordx4 a[52:55], v48, s[24:27], 0 offen offset:1024// 000000009244: E05C1400 80863430
	v_mfma_f32_16x16x32_fp8_fp8 v[64:67], a[90:91], a[26:27], v[64:67]// 00000000924C: D3F30040 1D02355A
	v_mfma_f32_16x16x32_fp8_fp8 v[64:67], a[92:93], a[28:29], v[64:67]// 000000009254: D3F30040 1D02395C
	v_mfma_f32_16x16x32_fp8_fp8 v[64:67], a[94:95], a[30:31], v[64:67]// 00000000925C: D3F30040 1D023D5E
	v_mfma_f32_16x16x32_fp8_fp8 v[76:79], a[96:97], a[24:25], v[76:79]// 000000009264: D3F3004C 1D323160
	buffer_load_dwordx4 a[56:59], v49, s[24:27], 0 offen       // 00000000926C: E05C1000 80863831
	v_mfma_f32_16x16x32_fp8_fp8 v[76:79], a[98:99], a[26:27], v[76:79]// 000000009274: D3F3004C 1D323562
	v_mfma_f32_16x16x32_fp8_fp8 v[76:79], a[100:101], a[28:29], v[76:79]// 00000000927C: D3F3004C 1D323964
	v_mfma_f32_16x16x32_fp8_fp8 v[76:79], a[102:103], a[30:31], v[76:79]// 000000009284: D3F3004C 1D323D66
	v_mfma_f32_16x16x32_fp8_fp8 v[88:91], a[104:105], a[24:25], v[88:91]// 00000000928C: D3F30058 1D623168
	buffer_load_dwordx4 a[60:63], v49, s[24:27], 0 offen offset:1024// 000000009294: E05C1400 80863C31
	v_mfma_f32_16x16x32_fp8_fp8 v[88:91], a[106:107], a[26:27], v[88:91]// 00000000929C: D3F30058 1D62356A
	v_mfma_f32_16x16x32_fp8_fp8 v[88:91], a[108:109], a[28:29], v[88:91]// 0000000092A4: D3F30058 1D62396C
	v_mfma_f32_16x16x32_fp8_fp8 v[88:91], a[110:111], a[30:31], v[88:91]// 0000000092AC: D3F30058 1D623D6E
	v_mfma_f32_16x16x32_fp8_fp8 v[56:59], a[80:81], a[32:33], v[56:59]// 0000000092B4: D3F30038 1CE24150
	buffer_load_dwordx4 a[64:67], v50, s[24:27], 0 offen       // 0000000092BC: E05C1000 80864032
	v_mfma_f32_16x16x32_fp8_fp8 v[56:59], a[82:83], a[34:35], v[56:59]// 0000000092C4: D3F30038 1CE24552
	v_mfma_f32_16x16x32_fp8_fp8 v[56:59], a[84:85], a[36:37], v[56:59]// 0000000092CC: D3F30038 1CE24954
	v_mfma_f32_16x16x32_fp8_fp8 v[56:59], a[86:87], a[38:39], v[56:59]// 0000000092D4: D3F30038 1CE24D56
	v_mfma_f32_16x16x32_fp8_fp8 v[68:71], a[88:89], a[32:33], v[68:71]// 0000000092DC: D3F30044 1D124158
	buffer_load_dwordx4 a[68:71], v50, s[24:27], 0 offen offset:1024// 0000000092E4: E05C1400 80864432
	v_mfma_f32_16x16x32_fp8_fp8 v[68:71], a[90:91], a[34:35], v[68:71]// 0000000092EC: D3F30044 1D12455A
	v_mfma_f32_16x16x32_fp8_fp8 v[68:71], a[92:93], a[36:37], v[68:71]// 0000000092F4: D3F30044 1D12495C
	v_mfma_f32_16x16x32_fp8_fp8 v[68:71], a[94:95], a[38:39], v[68:71]// 0000000092FC: D3F30044 1D124D5E
	v_mfma_f32_16x16x32_fp8_fp8 v[80:83], a[96:97], a[32:33], v[80:83]// 000000009304: D3F30050 1D424160
	buffer_load_dwordx4 a[72:75], v51, s[24:27], 0 offen       // 00000000930C: E05C1000 80864833
	v_mfma_f32_16x16x32_fp8_fp8 v[80:83], a[98:99], a[34:35], v[80:83]// 000000009314: D3F30050 1D424562
	v_mfma_f32_16x16x32_fp8_fp8 v[80:83], a[100:101], a[36:37], v[80:83]// 00000000931C: D3F30050 1D424964
	v_mfma_f32_16x16x32_fp8_fp8 v[80:83], a[102:103], a[38:39], v[80:83]// 000000009324: D3F30050 1D424D66
	v_mfma_f32_16x16x32_fp8_fp8 v[92:95], a[104:105], a[32:33], v[92:95]// 00000000932C: D3F3005C 1D724168
	buffer_load_dwordx4 a[76:79], v51, s[24:27], 0 offen offset:1024// 000000009334: E05C1400 80864C33
	buffer_load_dword v42, s[20:23], 0 offen lds               // 00000000933C: E0511000 8005002A
	s_add_u32 m0, 0x100, s49                                   // 000000009344: 807C31FF 00000100
	v_mfma_f32_16x16x32_fp8_fp8 v[92:95], a[106:107], a[34:35], v[92:95]// 00000000934C: D3F3005C 1D72456A
	v_mfma_f32_16x16x32_fp8_fp8 v[92:95], a[108:109], a[36:37], v[92:95]// 000000009354: D3F3005C 1D72496C
	buffer_load_dword v43, s[20:23], 0 offen lds               // 00000000935C: E0511000 8005002B
	s_add_u32 m0, 0x200, s49                                   // 000000009364: 807C31FF 00000200
	v_mfma_f32_16x16x32_fp8_fp8 v[92:95], a[110:111], a[38:39], v[92:95]// 00000000936C: D3F3005C 1D724D6E
	v_mfma_f32_16x16x32_fp8_fp8 v[60:63], a[80:81], a[40:41], v[60:63]// 000000009374: D3F3003C 1CF25150
	buffer_load_dword v44, s[20:23], 0 offen lds               // 00000000937C: E0511000 8005002C
	s_add_u32 m0, 0x300, s49                                   // 000000009384: 807C31FF 00000300
	v_mfma_f32_16x16x32_fp8_fp8 v[60:63], a[82:83], a[42:43], v[60:63]// 00000000938C: D3F3003C 1CF25552
	v_mfma_f32_16x16x32_fp8_fp8 v[60:63], a[84:85], a[44:45], v[60:63]// 000000009394: D3F3003C 1CF25954
	buffer_load_dword v45, s[20:23], 0 offen lds               // 00000000939C: E0511000 8005002D
	s_add_u32 m0, 0x400, s49                                   // 0000000093A4: 807C31FF 00000400
	v_mfma_f32_16x16x32_fp8_fp8 v[60:63], a[86:87], a[46:47], v[60:63]// 0000000093AC: D3F3003C 1CF25D56
	v_mfma_f32_16x16x32_fp8_fp8 v[72:75], a[88:89], a[40:41], v[72:75]// 0000000093B4: D3F30048 1D225158
	buffer_load_dword v46, s[20:23], 0 offen lds               // 0000000093BC: E0511000 8005002E
	s_add_u32 m0, 0x500, s49                                   // 0000000093C4: 807C31FF 00000500
	v_mfma_f32_16x16x32_fp8_fp8 v[72:75], a[90:91], a[42:43], v[72:75]// 0000000093CC: D3F30048 1D22555A
	v_mfma_f32_16x16x32_fp8_fp8 v[72:75], a[92:93], a[44:45], v[72:75]// 0000000093D4: D3F30048 1D22595C
	buffer_load_dword v47, s[20:23], 0 offen lds               // 0000000093DC: E0511000 8005002F
	s_add_u32 m0, 0, s50                                       // 0000000093E4: 807C3280
	v_mfma_f32_16x16x32_fp8_fp8 v[72:75], a[94:95], a[46:47], v[72:75]// 0000000093E8: D3F30048 1D225D5E
	v_mfma_f32_16x16x32_fp8_fp8 v[84:87], a[96:97], a[40:41], v[84:87]// 0000000093F0: D3F30054 1D525160
	v_mfma_f32_16x16x32_fp8_fp8 v[84:87], a[98:99], a[42:43], v[84:87]// 0000000093F8: D3F30054 1D525562
	v_mfma_f32_16x16x32_fp8_fp8 v[84:87], a[100:101], a[44:45], v[84:87]// 000000009400: D3F30054 1D525964
	v_mfma_f32_16x16x32_fp8_fp8 v[84:87], a[102:103], a[46:47], v[84:87]// 000000009408: D3F30054 1D525D66
	v_mfma_f32_16x16x32_fp8_fp8 v[96:99], a[104:105], a[40:41], v[96:99]// 000000009410: D3F30060 1D825168
	v_mfma_f32_16x16x32_fp8_fp8 v[96:99], a[106:107], a[42:43], v[96:99]// 000000009418: D3F30060 1D82556A
	v_mfma_f32_16x16x32_fp8_fp8 v[96:99], a[108:109], a[44:45], v[96:99]// 000000009420: D3F30060 1D82596C
	v_mfma_f32_16x16x32_fp8_fp8 v[96:99], a[110:111], a[46:47], v[96:99]// 000000009428: D3F30060 1D825D6E
	s_waitcnt vmcnt(14)                                        // 000000009430: BF8C0F7E
	s_barrier                                                  // 000000009434: BF8A0000
	v_mfma_f32_16x16x32_fp8_fp8 v[100:103], a[112:113], a[24:25], v[100:103]// 000000009438: D3F30064 1D923170
	buffer_load_dwordx4 a[80:83], v48, s[84:87], 0 offen       // 000000009440: E05C1000 80955030
	v_mfma_f32_16x16x32_fp8_fp8 v[100:103], a[114:115], a[26:27], v[100:103]// 000000009448: D3F30064 1D923572
	v_mfma_f32_16x16x32_fp8_fp8 v[100:103], a[116:117], a[28:29], v[100:103]// 000000009450: D3F30064 1D923974
	ds_read_b128 a[0:3], v2                                    // 000000009458: DBFE0000 00000002
	ds_read_b128 a[4:7], v2 offset:64                          // 000000009460: DBFE0040 04000002
	v_mfma_f32_16x16x32_fp8_fp8 v[100:103], a[118:119], a[30:31], v[100:103]// 000000009468: D3F30064 1D923D76
	v_mfma_f32_16x16x32_fp8_fp8 v[112:115], a[120:121], a[24:25], v[112:115]// 000000009470: D3F30070 1DC23178
	buffer_load_dwordx4 a[84:87], v48, s[84:87], 0 offen offset:1024// 000000009478: E05C1400 80955430
	v_mfma_f32_16x16x32_fp8_fp8 v[112:115], a[122:123], a[26:27], v[112:115]// 000000009480: D3F30070 1DC2357A
	v_mfma_f32_16x16x32_fp8_fp8 v[112:115], a[124:125], a[28:29], v[112:115]// 000000009488: D3F30070 1DC2397C
	ds_read_b128 a[8:11], v2 offset:512                        // 000000009490: DBFE0200 08000002
	ds_read_b128 a[12:15], v2 offset:576                       // 000000009498: DBFE0240 0C000002
	v_mfma_f32_16x16x32_fp8_fp8 v[112:115], a[126:127], a[30:31], v[112:115]// 0000000094A0: D3F30070 1DC23D7E
	v_mfma_f32_16x16x32_fp8_fp8 v[124:127], a[128:129], a[24:25], v[124:127]// 0000000094A8: D3F3007C 1DF23180
	buffer_load_dwordx4 a[88:91], v49, s[84:87], 0 offen       // 0000000094B0: E05C1000 80955831
	v_mfma_f32_16x16x32_fp8_fp8 v[124:127], a[130:131], a[26:27], v[124:127]// 0000000094B8: D3F3007C 1DF23582
	v_mfma_f32_16x16x32_fp8_fp8 v[124:127], a[132:133], a[28:29], v[124:127]// 0000000094C0: D3F3007C 1DF23984
	ds_read_b128 a[16:19], v2 offset:1024                      // 0000000094C8: DBFE0400 10000002
	ds_read_b128 a[20:23], v2 offset:1088                      // 0000000094D0: DBFE0440 14000002
	v_mfma_f32_16x16x32_fp8_fp8 v[124:127], a[134:135], a[30:31], v[124:127]// 0000000094D8: D3F3007C 1DF23D86
	v_mfma_f32_16x16x32_fp8_fp8 v[136:139], a[136:137], a[24:25], v[136:139]// 0000000094E0: D3F30088 1E223188
	buffer_load_dwordx4 a[92:95], v49, s[84:87], 0 offen offset:1024// 0000000094E8: E05C1400 80955C31
	v_mfma_f32_16x16x32_fp8_fp8 v[136:139], a[138:139], a[26:27], v[136:139]// 0000000094F0: D3F30088 1E22358A
	v_mfma_f32_16x16x32_fp8_fp8 v[136:139], a[140:141], a[28:29], v[136:139]// 0000000094F8: D3F30088 1E22398C
	v_mfma_f32_16x16x32_fp8_fp8 v[136:139], a[142:143], a[30:31], v[136:139]// 000000009500: D3F30088 1E223D8E
	v_mfma_f32_16x16x32_fp8_fp8 v[104:107], a[112:113], a[32:33], v[104:107]// 000000009508: D3F30068 1DA24170
	buffer_load_dwordx4 a[96:99], v50, s[84:87], 0 offen       // 000000009510: E05C1000 80956032
	v_mfma_f32_16x16x32_fp8_fp8 v[104:107], a[114:115], a[34:35], v[104:107]// 000000009518: D3F30068 1DA24572
	v_mfma_f32_16x16x32_fp8_fp8 v[104:107], a[116:117], a[36:37], v[104:107]// 000000009520: D3F30068 1DA24974
	v_mfma_f32_16x16x32_fp8_fp8 v[104:107], a[118:119], a[38:39], v[104:107]// 000000009528: D3F30068 1DA24D76
	v_mfma_f32_16x16x32_fp8_fp8 v[116:119], a[120:121], a[32:33], v[116:119]// 000000009530: D3F30074 1DD24178
	buffer_load_dwordx4 a[100:103], v50, s[84:87], 0 offen offset:1024// 000000009538: E05C1400 80956432
	v_mfma_f32_16x16x32_fp8_fp8 v[116:119], a[122:123], a[34:35], v[116:119]// 000000009540: D3F30074 1DD2457A
	v_mfma_f32_16x16x32_fp8_fp8 v[116:119], a[124:125], a[36:37], v[116:119]// 000000009548: D3F30074 1DD2497C
	v_mfma_f32_16x16x32_fp8_fp8 v[116:119], a[126:127], a[38:39], v[116:119]// 000000009550: D3F30074 1DD24D7E
	v_mfma_f32_16x16x32_fp8_fp8 v[128:131], a[128:129], a[32:33], v[128:131]// 000000009558: D3F30080 1E024180
	buffer_load_dwordx4 a[104:107], v51, s[84:87], 0 offen     // 000000009560: E05C1000 80956833
	v_mfma_f32_16x16x32_fp8_fp8 v[128:131], a[130:131], a[34:35], v[128:131]// 000000009568: D3F30080 1E024582
	v_mfma_f32_16x16x32_fp8_fp8 v[128:131], a[132:133], a[36:37], v[128:131]// 000000009570: D3F30080 1E024984
	v_mfma_f32_16x16x32_fp8_fp8 v[128:131], a[134:135], a[38:39], v[128:131]// 000000009578: D3F30080 1E024D86
	v_mfma_f32_16x16x32_fp8_fp8 v[140:143], a[136:137], a[32:33], v[140:143]// 000000009580: D3F3008C 1E324188
	buffer_load_dwordx4 a[108:111], v51, s[84:87], 0 offen offset:1024// 000000009588: E05C1400 80956C33
	v_mfma_f32_16x16x32_fp8_fp8 v[140:143], a[138:139], a[34:35], v[140:143]// 000000009590: D3F3008C 1E32458A
	v_mfma_f32_16x16x32_fp8_fp8 v[140:143], a[140:141], a[36:37], v[140:143]// 000000009598: D3F3008C 1E32498C
	v_mfma_f32_16x16x32_fp8_fp8 v[140:143], a[142:143], a[38:39], v[140:143]// 0000000095A0: D3F3008C 1E324D8E
	v_mfma_f32_16x16x32_fp8_fp8 v[108:111], a[112:113], a[40:41], v[108:111]// 0000000095A8: D3F3006C 1DB25170
	v_mfma_f32_16x16x32_fp8_fp8 v[108:111], a[114:115], a[42:43], v[108:111]// 0000000095B0: D3F3006C 1DB25572
	v_mfma_f32_16x16x32_fp8_fp8 v[108:111], a[116:117], a[44:45], v[108:111]// 0000000095B8: D3F3006C 1DB25974
	v_mfma_f32_16x16x32_fp8_fp8 v[108:111], a[118:119], a[46:47], v[108:111]// 0000000095C0: D3F3006C 1DB25D76
	v_mfma_f32_16x16x32_fp8_fp8 v[120:123], a[120:121], a[40:41], v[120:123]// 0000000095C8: D3F30078 1DE25178
	v_mfma_f32_16x16x32_fp8_fp8 v[120:123], a[122:123], a[42:43], v[120:123]// 0000000095D0: D3F30078 1DE2557A
	v_mfma_f32_16x16x32_fp8_fp8 v[120:123], a[124:125], a[44:45], v[120:123]// 0000000095D8: D3F30078 1DE2597C
	v_mfma_f32_16x16x32_fp8_fp8 v[120:123], a[126:127], a[46:47], v[120:123]// 0000000095E0: D3F30078 1DE25D7E
	v_mfma_f32_16x16x32_fp8_fp8 v[132:135], a[128:129], a[40:41], v[132:135]// 0000000095E8: D3F30084 1E125180
	s_add_u32 s60, 0x180, s80                                  // 0000000095F0: 803C50FF 00000180
	s_cmp_lt_u32 s60, s81                                      // 0000000095F8: BF0A513C
	s_cselect_b32 s57, s57, 0                                  // 0000000095FC: 85398039
	v_mfma_f32_16x16x32_fp8_fp8 v[132:135], a[130:131], a[42:43], v[132:135]// 000000009600: D3F30084 1E125582
	s_add_u32 s60, 0x100, s80                                  // 000000009608: 803C50FF 00000100
	s_cmp_lt_u32 s60, s81                                      // 000000009610: BF0A513C
	s_cselect_b32 s58, s58, 0                                  // 000000009614: 853A803A
	v_mfma_f32_16x16x32_fp8_fp8 v[132:135], a[132:133], a[44:45], v[132:135]// 000000009618: D3F30084 1E125984
	s_add_u32 s60, 0x100, s80                                  // 000000009620: 803C50FF 00000100
	s_cmp_lt_u32 s60, s81                                      // 000000009628: BF0A513C
	s_cselect_b32 s83, s83, 0                                  // 00000000962C: 85538053
	v_mfma_f32_16x16x32_fp8_fp8 v[132:135], a[134:135], a[46:47], v[132:135]// 000000009630: D3F30084 1E125D86
	s_add_u32 s24, s58, s24                                    // 000000009638: 8018183A
	s_addc_u32 s25, 0, s25                                     // 00000000963C: 82191980
	v_mfma_f32_16x16x32_fp8_fp8 v[144:147], a[136:137], a[40:41], v[144:147]// 000000009640: D3F30090 1E425188
	s_add_u32 s20, s57, s20                                    // 000000009648: 80141439
	s_addc_u32 s21, 0, s21                                     // 00000000964C: 82151580
	v_mfma_f32_16x16x32_fp8_fp8 v[144:147], a[138:139], a[42:43], v[144:147]// 000000009650: D3F30090 1E42558A
	s_add_u32 s84, s83, s84                                    // 000000009658: 80545453
	s_addc_u32 s85, 0, s85                                     // 00000000965C: 82555580
	v_mfma_f32_16x16x32_fp8_fp8 v[144:147], a[140:141], a[44:45], v[144:147]// 000000009660: D3F30090 1E42598C
	v_mfma_f32_16x16x32_fp8_fp8 v[144:147], a[142:143], a[46:47], v[144:147]// 000000009668: D3F30090 1E425D8E
	s_addk_i32 s80, 0x80                                       // 000000009670: B7500080
	s_cmp_lt_i32 s80, s81                                      // 000000009674: BF045150
	s_cbranch_scc0 label_1B23                                  // 000000009678: BF840001
	s_branch label_1480                                        // 00000000967C: BF82F95D

0000000000009680 <label_1B23>:
	v_mul_f32_dpp v52, v24, v52 row_newbcast:0 row_mask:0xf bank_mask:0xf// 000000009680: 0A6868FA FF015018
	v_mul_f32_dpp v53, v24, v53 row_newbcast:1 row_mask:0xf bank_mask:0xf// 000000009688: 0A6A6AFA FF015118
	v_mul_f32_dpp v54, v24, v54 row_newbcast:2 row_mask:0xf bank_mask:0xf// 000000009690: 0A6C6CFA FF015218
	v_mul_f32_dpp v55, v24, v55 row_newbcast:3 row_mask:0xf bank_mask:0xf// 000000009698: 0A6E6EFA FF015318
	v_mul_f32_dpp v56, v24, v56 row_newbcast:0 row_mask:0xf bank_mask:0xf// 0000000096A0: 0A7070FA FF015018
	v_mul_f32_dpp v57, v24, v57 row_newbcast:1 row_mask:0xf bank_mask:0xf// 0000000096A8: 0A7272FA FF015118
	v_mul_f32_dpp v58, v24, v58 row_newbcast:2 row_mask:0xf bank_mask:0xf// 0000000096B0: 0A7474FA FF015218
	v_mul_f32_dpp v59, v24, v59 row_newbcast:3 row_mask:0xf bank_mask:0xf// 0000000096B8: 0A7676FA FF015318
	v_mul_f32_dpp v60, v24, v60 row_newbcast:0 row_mask:0xf bank_mask:0xf// 0000000096C0: 0A7878FA FF015018
	v_mul_f32_dpp v61, v24, v61 row_newbcast:1 row_mask:0xf bank_mask:0xf// 0000000096C8: 0A7A7AFA FF015118
	v_mul_f32_dpp v62, v24, v62 row_newbcast:2 row_mask:0xf bank_mask:0xf// 0000000096D0: 0A7C7CFA FF015218
	v_mul_f32_dpp v63, v24, v63 row_newbcast:3 row_mask:0xf bank_mask:0xf// 0000000096D8: 0A7E7EFA FF015318
	v_mul_f32_dpp v64, v24, v64 row_newbcast:4 row_mask:0xf bank_mask:0xf// 0000000096E0: 0A8080FA FF015418
	v_mul_f32_dpp v65, v24, v65 row_newbcast:5 row_mask:0xf bank_mask:0xf// 0000000096E8: 0A8282FA FF015518
	v_mul_f32_dpp v66, v24, v66 row_newbcast:6 row_mask:0xf bank_mask:0xf// 0000000096F0: 0A8484FA FF015618
	v_mul_f32_dpp v67, v24, v67 row_newbcast:7 row_mask:0xf bank_mask:0xf// 0000000096F8: 0A8686FA FF015718
	v_mul_f32_dpp v68, v24, v68 row_newbcast:4 row_mask:0xf bank_mask:0xf// 000000009700: 0A8888FA FF015418
	v_mul_f32_dpp v69, v24, v69 row_newbcast:5 row_mask:0xf bank_mask:0xf// 000000009708: 0A8A8AFA FF015518
	v_mul_f32_dpp v70, v24, v70 row_newbcast:6 row_mask:0xf bank_mask:0xf// 000000009710: 0A8C8CFA FF015618
	v_mul_f32_dpp v71, v24, v71 row_newbcast:7 row_mask:0xf bank_mask:0xf// 000000009718: 0A8E8EFA FF015718
	v_mul_f32_dpp v72, v24, v72 row_newbcast:4 row_mask:0xf bank_mask:0xf// 000000009720: 0A9090FA FF015418
	v_mul_f32_dpp v73, v24, v73 row_newbcast:5 row_mask:0xf bank_mask:0xf// 000000009728: 0A9292FA FF015518
	v_mul_f32_dpp v74, v24, v74 row_newbcast:6 row_mask:0xf bank_mask:0xf// 000000009730: 0A9494FA FF015618
	v_mul_f32_dpp v75, v24, v75 row_newbcast:7 row_mask:0xf bank_mask:0xf// 000000009738: 0A9696FA FF015718
	v_mul_f32_dpp v76, v24, v76 row_newbcast:8 row_mask:0xf bank_mask:0xf// 000000009740: 0A9898FA FF015818
	v_mul_f32_dpp v77, v24, v77 row_newbcast:9 row_mask:0xf bank_mask:0xf// 000000009748: 0A9A9AFA FF015918
	v_mul_f32_dpp v78, v24, v78 row_newbcast:10 row_mask:0xf bank_mask:0xf// 000000009750: 0A9C9CFA FF015A18
	v_mul_f32_dpp v79, v24, v79 row_newbcast:11 row_mask:0xf bank_mask:0xf// 000000009758: 0A9E9EFA FF015B18
	v_mul_f32_dpp v80, v24, v80 row_newbcast:8 row_mask:0xf bank_mask:0xf// 000000009760: 0AA0A0FA FF015818
	v_mul_f32_dpp v81, v24, v81 row_newbcast:9 row_mask:0xf bank_mask:0xf// 000000009768: 0AA2A2FA FF015918
	v_mul_f32_dpp v82, v24, v82 row_newbcast:10 row_mask:0xf bank_mask:0xf// 000000009770: 0AA4A4FA FF015A18
	v_mul_f32_dpp v83, v24, v83 row_newbcast:11 row_mask:0xf bank_mask:0xf// 000000009778: 0AA6A6FA FF015B18
	v_mul_f32_dpp v84, v24, v84 row_newbcast:8 row_mask:0xf bank_mask:0xf// 000000009780: 0AA8A8FA FF015818
	v_mul_f32_dpp v85, v24, v85 row_newbcast:9 row_mask:0xf bank_mask:0xf// 000000009788: 0AAAAAFA FF015918
	v_mul_f32_dpp v86, v24, v86 row_newbcast:10 row_mask:0xf bank_mask:0xf// 000000009790: 0AACACFA FF015A18
	v_mul_f32_dpp v87, v24, v87 row_newbcast:11 row_mask:0xf bank_mask:0xf// 000000009798: 0AAEAEFA FF015B18
	v_mul_f32_dpp v88, v24, v88 row_newbcast:12 row_mask:0xf bank_mask:0xf// 0000000097A0: 0AB0B0FA FF015C18
	v_mul_f32_dpp v89, v24, v89 row_newbcast:13 row_mask:0xf bank_mask:0xf// 0000000097A8: 0AB2B2FA FF015D18
	v_mul_f32_dpp v90, v24, v90 row_newbcast:14 row_mask:0xf bank_mask:0xf// 0000000097B0: 0AB4B4FA FF015E18
	v_mul_f32_dpp v91, v24, v91 row_newbcast:15 row_mask:0xf bank_mask:0xf// 0000000097B8: 0AB6B6FA FF015F18
	v_mul_f32_dpp v92, v24, v92 row_newbcast:12 row_mask:0xf bank_mask:0xf// 0000000097C0: 0AB8B8FA FF015C18
	v_mul_f32_dpp v93, v24, v93 row_newbcast:13 row_mask:0xf bank_mask:0xf// 0000000097C8: 0ABABAFA FF015D18
	v_mul_f32_dpp v94, v24, v94 row_newbcast:14 row_mask:0xf bank_mask:0xf// 0000000097D0: 0ABCBCFA FF015E18
	v_mul_f32_dpp v95, v24, v95 row_newbcast:15 row_mask:0xf bank_mask:0xf// 0000000097D8: 0ABEBEFA FF015F18
	v_mul_f32_dpp v96, v24, v96 row_newbcast:12 row_mask:0xf bank_mask:0xf// 0000000097E0: 0AC0C0FA FF015C18
	v_mul_f32_dpp v97, v24, v97 row_newbcast:13 row_mask:0xf bank_mask:0xf// 0000000097E8: 0AC2C2FA FF015D18
	v_mul_f32_dpp v98, v24, v98 row_newbcast:14 row_mask:0xf bank_mask:0xf// 0000000097F0: 0AC4C4FA FF015E18
	v_mul_f32_dpp v99, v24, v99 row_newbcast:15 row_mask:0xf bank_mask:0xf// 0000000097F8: 0AC6C6FA FF015F18
	v_mul_f32_dpp v100, v27, v100 row_newbcast:0 row_mask:0xf bank_mask:0xf// 000000009800: 0AC8C8FA FF01501B
	v_mul_f32_dpp v101, v27, v101 row_newbcast:1 row_mask:0xf bank_mask:0xf// 000000009808: 0ACACAFA FF01511B
	v_mul_f32_dpp v102, v27, v102 row_newbcast:2 row_mask:0xf bank_mask:0xf// 000000009810: 0ACCCCFA FF01521B
	v_mul_f32_dpp v103, v27, v103 row_newbcast:3 row_mask:0xf bank_mask:0xf// 000000009818: 0ACECEFA FF01531B
	v_mul_f32_dpp v104, v27, v104 row_newbcast:0 row_mask:0xf bank_mask:0xf// 000000009820: 0AD0D0FA FF01501B
	v_mul_f32_dpp v105, v27, v105 row_newbcast:1 row_mask:0xf bank_mask:0xf// 000000009828: 0AD2D2FA FF01511B
	v_mul_f32_dpp v106, v27, v106 row_newbcast:2 row_mask:0xf bank_mask:0xf// 000000009830: 0AD4D4FA FF01521B
	v_mul_f32_dpp v107, v27, v107 row_newbcast:3 row_mask:0xf bank_mask:0xf// 000000009838: 0AD6D6FA FF01531B
	v_mul_f32_dpp v108, v27, v108 row_newbcast:0 row_mask:0xf bank_mask:0xf// 000000009840: 0AD8D8FA FF01501B
	v_mul_f32_dpp v109, v27, v109 row_newbcast:1 row_mask:0xf bank_mask:0xf// 000000009848: 0ADADAFA FF01511B
	v_mul_f32_dpp v110, v27, v110 row_newbcast:2 row_mask:0xf bank_mask:0xf// 000000009850: 0ADCDCFA FF01521B
	v_mul_f32_dpp v111, v27, v111 row_newbcast:3 row_mask:0xf bank_mask:0xf// 000000009858: 0ADEDEFA FF01531B
	v_mul_f32_dpp v112, v27, v112 row_newbcast:4 row_mask:0xf bank_mask:0xf// 000000009860: 0AE0E0FA FF01541B
	v_mul_f32_dpp v113, v27, v113 row_newbcast:5 row_mask:0xf bank_mask:0xf// 000000009868: 0AE2E2FA FF01551B
	v_mul_f32_dpp v114, v27, v114 row_newbcast:6 row_mask:0xf bank_mask:0xf// 000000009870: 0AE4E4FA FF01561B
	v_mul_f32_dpp v115, v27, v115 row_newbcast:7 row_mask:0xf bank_mask:0xf// 000000009878: 0AE6E6FA FF01571B
	v_mul_f32_dpp v116, v27, v116 row_newbcast:4 row_mask:0xf bank_mask:0xf// 000000009880: 0AE8E8FA FF01541B
	v_mul_f32_dpp v117, v27, v117 row_newbcast:5 row_mask:0xf bank_mask:0xf// 000000009888: 0AEAEAFA FF01551B
	v_mul_f32_dpp v118, v27, v118 row_newbcast:6 row_mask:0xf bank_mask:0xf// 000000009890: 0AECECFA FF01561B
	v_mul_f32_dpp v119, v27, v119 row_newbcast:7 row_mask:0xf bank_mask:0xf// 000000009898: 0AEEEEFA FF01571B
	v_mul_f32_dpp v120, v27, v120 row_newbcast:4 row_mask:0xf bank_mask:0xf// 0000000098A0: 0AF0F0FA FF01541B
	v_mul_f32_dpp v121, v27, v121 row_newbcast:5 row_mask:0xf bank_mask:0xf// 0000000098A8: 0AF2F2FA FF01551B
	v_mul_f32_dpp v122, v27, v122 row_newbcast:6 row_mask:0xf bank_mask:0xf// 0000000098B0: 0AF4F4FA FF01561B
	v_mul_f32_dpp v123, v27, v123 row_newbcast:7 row_mask:0xf bank_mask:0xf// 0000000098B8: 0AF6F6FA FF01571B
	v_mul_f32_dpp v124, v27, v124 row_newbcast:8 row_mask:0xf bank_mask:0xf// 0000000098C0: 0AF8F8FA FF01581B
	v_mul_f32_dpp v125, v27, v125 row_newbcast:9 row_mask:0xf bank_mask:0xf// 0000000098C8: 0AFAFAFA FF01591B
	v_mul_f32_dpp v126, v27, v126 row_newbcast:10 row_mask:0xf bank_mask:0xf// 0000000098D0: 0AFCFCFA FF015A1B
	v_mul_f32_dpp v127, v27, v127 row_newbcast:11 row_mask:0xf bank_mask:0xf// 0000000098D8: 0AFEFEFA FF015B1B
	v_mul_f32_dpp v128, v27, v128 row_newbcast:8 row_mask:0xf bank_mask:0xf// 0000000098E0: 0B0100FA FF01581B
	v_mul_f32_dpp v129, v27, v129 row_newbcast:9 row_mask:0xf bank_mask:0xf// 0000000098E8: 0B0302FA FF01591B
	v_mul_f32_dpp v130, v27, v130 row_newbcast:10 row_mask:0xf bank_mask:0xf// 0000000098F0: 0B0504FA FF015A1B
	v_mul_f32_dpp v131, v27, v131 row_newbcast:11 row_mask:0xf bank_mask:0xf// 0000000098F8: 0B0706FA FF015B1B
	v_mul_f32_dpp v132, v27, v132 row_newbcast:8 row_mask:0xf bank_mask:0xf// 000000009900: 0B0908FA FF01581B
	v_mul_f32_dpp v133, v27, v133 row_newbcast:9 row_mask:0xf bank_mask:0xf// 000000009908: 0B0B0AFA FF01591B
	v_mul_f32_dpp v134, v27, v134 row_newbcast:10 row_mask:0xf bank_mask:0xf// 000000009910: 0B0D0CFA FF015A1B
	v_mul_f32_dpp v135, v27, v135 row_newbcast:11 row_mask:0xf bank_mask:0xf// 000000009918: 0B0F0EFA FF015B1B
	v_mul_f32_dpp v136, v27, v136 row_newbcast:12 row_mask:0xf bank_mask:0xf// 000000009920: 0B1110FA FF015C1B
	v_mul_f32_dpp v137, v27, v137 row_newbcast:13 row_mask:0xf bank_mask:0xf// 000000009928: 0B1312FA FF015D1B
	v_mul_f32_dpp v138, v27, v138 row_newbcast:14 row_mask:0xf bank_mask:0xf// 000000009930: 0B1514FA FF015E1B
	v_mul_f32_dpp v139, v27, v139 row_newbcast:15 row_mask:0xf bank_mask:0xf// 000000009938: 0B1716FA FF015F1B
	v_mul_f32_dpp v140, v27, v140 row_newbcast:12 row_mask:0xf bank_mask:0xf// 000000009940: 0B1918FA FF015C1B
	v_mul_f32_dpp v141, v27, v141 row_newbcast:13 row_mask:0xf bank_mask:0xf// 000000009948: 0B1B1AFA FF015D1B
	v_mul_f32_dpp v142, v27, v142 row_newbcast:14 row_mask:0xf bank_mask:0xf// 000000009950: 0B1D1CFA FF015E1B
	v_mul_f32_dpp v143, v27, v143 row_newbcast:15 row_mask:0xf bank_mask:0xf// 000000009958: 0B1F1EFA FF015F1B
	v_mul_f32_dpp v144, v27, v144 row_newbcast:12 row_mask:0xf bank_mask:0xf// 000000009960: 0B2120FA FF015C1B
	v_mul_f32_dpp v145, v27, v145 row_newbcast:13 row_mask:0xf bank_mask:0xf// 000000009968: 0B2322FA FF015D1B
	v_mul_f32_dpp v146, v27, v146 row_newbcast:14 row_mask:0xf bank_mask:0xf// 000000009970: 0B2524FA FF015E1B
	v_mul_f32_dpp v147, v27, v147 row_newbcast:15 row_mask:0xf bank_mask:0xf// 000000009978: 0B2726FA FF015F1B
	v_mul_f32_e32 v33, v33, v148                               // 000000009980: 0A432921
	v_mov_b32_e32 v4, v33                                      // 000000009984: 7E080321
	v_mov_b32_e32 v5, v4                                       // 000000009988: 7E0A0304
	v_pk_mul_f32 v[52:53], v[4:5], v[52:53]                    // 00000000998C: D3B14034 18026904
	v_pk_mul_f32 v[100:101], v[4:5], v[100:101]                // 000000009994: D3B14064 1802C904
	v_pk_mul_f32 v[54:55], v[4:5], v[54:55]                    // 00000000999C: D3B14036 18026D04
	v_pk_mul_f32 v[102:103], v[4:5], v[102:103]                // 0000000099A4: D3B14066 1802CD04
	v_pk_mul_f32 v[64:65], v[4:5], v[64:65]                    // 0000000099AC: D3B14040 18028104
	v_pk_mul_f32 v[112:113], v[4:5], v[112:113]                // 0000000099B4: D3B14070 1802E104
	v_pk_mul_f32 v[66:67], v[4:5], v[66:67]                    // 0000000099BC: D3B14042 18028504
	v_pk_mul_f32 v[114:115], v[4:5], v[114:115]                // 0000000099C4: D3B14072 1802E504
	v_pk_mul_f32 v[76:77], v[4:5], v[76:77]                    // 0000000099CC: D3B1404C 18029904
	v_pk_mul_f32 v[124:125], v[4:5], v[124:125]                // 0000000099D4: D3B1407C 1802F904
	v_pk_mul_f32 v[78:79], v[4:5], v[78:79]                    // 0000000099DC: D3B1404E 18029D04
	v_pk_mul_f32 v[126:127], v[4:5], v[126:127]                // 0000000099E4: D3B1407E 1802FD04
	v_pk_mul_f32 v[88:89], v[4:5], v[88:89]                    // 0000000099EC: D3B14058 1802B104
	v_pk_mul_f32 v[136:137], v[4:5], v[136:137]                // 0000000099F4: D3B14088 18031104
	v_pk_mul_f32 v[90:91], v[4:5], v[90:91]                    // 0000000099FC: D3B1405A 1802B504
	v_pk_mul_f32 v[138:139], v[4:5], v[138:139]                // 000000009A04: D3B1408A 18031504
	v_mul_f32_e32 v34, v34, v149                               // 000000009A0C: 0A452B22
	v_mov_b32_e32 v4, v34                                      // 000000009A10: 7E080322
	v_mov_b32_e32 v5, v4                                       // 000000009A14: 7E0A0304
	v_pk_mul_f32 v[56:57], v[4:5], v[56:57]                    // 000000009A18: D3B14038 18027104
	v_pk_mul_f32 v[104:105], v[4:5], v[104:105]                // 000000009A20: D3B14068 1802D104
	v_pk_mul_f32 v[58:59], v[4:5], v[58:59]                    // 000000009A28: D3B1403A 18027504
	v_pk_mul_f32 v[106:107], v[4:5], v[106:107]                // 000000009A30: D3B1406A 1802D504
	v_pk_mul_f32 v[68:69], v[4:5], v[68:69]                    // 000000009A38: D3B14044 18028904
	v_pk_mul_f32 v[116:117], v[4:5], v[116:117]                // 000000009A40: D3B14074 1802E904
	v_pk_mul_f32 v[70:71], v[4:5], v[70:71]                    // 000000009A48: D3B14046 18028D04
	v_pk_mul_f32 v[118:119], v[4:5], v[118:119]                // 000000009A50: D3B14076 1802ED04
	v_pk_mul_f32 v[80:81], v[4:5], v[80:81]                    // 000000009A58: D3B14050 1802A104
	v_pk_mul_f32 v[128:129], v[4:5], v[128:129]                // 000000009A60: D3B14080 18030104
	v_pk_mul_f32 v[82:83], v[4:5], v[82:83]                    // 000000009A68: D3B14052 1802A504
	v_pk_mul_f32 v[130:131], v[4:5], v[130:131]                // 000000009A70: D3B14082 18030504
	v_pk_mul_f32 v[92:93], v[4:5], v[92:93]                    // 000000009A78: D3B1405C 1802B904
	v_pk_mul_f32 v[140:141], v[4:5], v[140:141]                // 000000009A80: D3B1408C 18031904
	v_pk_mul_f32 v[94:95], v[4:5], v[94:95]                    // 000000009A88: D3B1405E 1802BD04
	v_pk_mul_f32 v[142:143], v[4:5], v[142:143]                // 000000009A90: D3B1408E 18031D04
	v_mul_f32_e32 v35, v35, v150                               // 000000009A98: 0A472D23
	v_mov_b32_e32 v4, v35                                      // 000000009A9C: 7E080323
	v_mov_b32_e32 v5, v4                                       // 000000009AA0: 7E0A0304
	v_pk_mul_f32 v[60:61], v[4:5], v[60:61]                    // 000000009AA4: D3B1403C 18027904
	v_pk_mul_f32 v[108:109], v[4:5], v[108:109]                // 000000009AAC: D3B1406C 1802D904
	v_pk_mul_f32 v[62:63], v[4:5], v[62:63]                    // 000000009AB4: D3B1403E 18027D04
	v_pk_mul_f32 v[110:111], v[4:5], v[110:111]                // 000000009ABC: D3B1406E 1802DD04
	v_pk_mul_f32 v[72:73], v[4:5], v[72:73]                    // 000000009AC4: D3B14048 18029104
	v_pk_mul_f32 v[120:121], v[4:5], v[120:121]                // 000000009ACC: D3B14078 1802F104
	v_pk_mul_f32 v[74:75], v[4:5], v[74:75]                    // 000000009AD4: D3B1404A 18029504
	v_pk_mul_f32 v[122:123], v[4:5], v[122:123]                // 000000009ADC: D3B1407A 1802F504
	v_pk_mul_f32 v[84:85], v[4:5], v[84:85]                    // 000000009AE4: D3B14054 1802A904
	v_pk_mul_f32 v[132:133], v[4:5], v[132:133]                // 000000009AEC: D3B14084 18030904
	v_pk_mul_f32 v[86:87], v[4:5], v[86:87]                    // 000000009AF4: D3B14056 1802AD04
	v_pk_mul_f32 v[134:135], v[4:5], v[134:135]                // 000000009AFC: D3B14086 18030D04
	v_pk_mul_f32 v[96:97], v[4:5], v[96:97]                    // 000000009B04: D3B14060 1802C104
	v_pk_mul_f32 v[144:145], v[4:5], v[144:145]                // 000000009B0C: D3B14090 18032104
	v_pk_mul_f32 v[98:99], v[4:5], v[98:99]                    // 000000009B14: D3B14062 1802C504
	v_pk_mul_f32 v[146:147], v[4:5], v[146:147]                // 000000009B1C: D3B14092 18032504
	s_cmp_eq_u32 s88, 0                                        // 000000009B24: BF068058
	s_cbranch_scc0 label_227B                                  // 000000009B28: BF84062D
	s_cmp_eq_u32 s89, 0                                        // 000000009B2C: BF068059
	s_cbranch_scc1 label_1E35                                  // 000000009B30: BF8501E5
	v_mov_b32_e32 v8, v1                                       // 000000009B34: 7E100301
	v_mov_b32_e32 v9, v1                                       // 000000009B38: 7E120301
	s_mov_b32 s60, s6                                          // 000000009B3C: BEBC0006
	s_mov_b32 s61, s6                                          // 000000009B40: BEBD0006
	v_pk_mul_f32 v[4:5], v[52:53], v[52:53]                    // 000000009B44: D3B14004 18026934
	v_pk_mul_f32 v[6:7], v[54:55], v[54:55]                    // 000000009B4C: D3B14006 18026D36
	v_pk_fma_f32 v[4:5], v[4:5], s[78:79], v[8:9]              // 000000009B54: D3B04004 1C209D04
	v_pk_fma_f32 v[6:7], v[6:7], s[78:79], v[8:9]              // 000000009B5C: D3B04006 1C209D06
	v_pk_mul_f32 v[4:5], v[4:5], v[52:53]                      // 000000009B64: D3B14004 18026904
	v_pk_mul_f32 v[6:7], v[6:7], v[54:55]                      // 000000009B6C: D3B14006 18026D06
	v_pk_mul_f32 v[4:5], v[4:5], s[60:61]                      // 000000009B74: D3B14004 18007904
	v_pk_mul_f32 v[6:7], v[6:7], s[60:61]                      // 000000009B7C: D3B14006 18007906
	v_exp_f32_e32 v4, v4                                       // 000000009B84: 7E084104
	v_exp_f32_e32 v5, v5                                       // 000000009B88: 7E0A4105
	v_exp_f32_e32 v6, v6                                       // 000000009B8C: 7E0C4106
	v_exp_f32_e32 v7, v7                                       // 000000009B90: 7E0E4107
	v_add_f32_e64 v4, v4, 1.0                                  // 000000009B94: D1010004 0001E504
	v_add_f32_e64 v5, v5, 1.0                                  // 000000009B9C: D1010005 0001E505
	v_add_f32_e64 v6, v6, 1.0                                  // 000000009BA4: D1010006 0001E506
	v_add_f32_e64 v7, v7, 1.0                                  // 000000009BAC: D1010007 0001E507
	v_rcp_f32_e32 v4, v4                                       // 000000009BB4: 7E084504
	v_rcp_f32_e32 v5, v5                                       // 000000009BB8: 7E0A4505
	v_rcp_f32_e32 v6, v6                                       // 000000009BBC: 7E0C4506
	v_rcp_f32_e32 v7, v7                                       // 000000009BC0: 7E0E4507
	v_mul_f32_e32 v52, v52, v4                                 // 000000009BC4: 0A680934
	v_mul_f32_e32 v53, v53, v5                                 // 000000009BC8: 0A6A0B35
	v_mul_f32_e32 v54, v54, v6                                 // 000000009BCC: 0A6C0D36
	v_mul_f32_e32 v55, v55, v7                                 // 000000009BD0: 0A6E0F37
	v_mul_f32_e32 v52, v52, v100                               // 000000009BD4: 0A68C934
	v_mul_f32_e32 v53, v53, v101                               // 000000009BD8: 0A6ACB35
	v_mul_f32_e32 v54, v54, v102                               // 000000009BDC: 0A6CCD36
	v_mul_f32_e32 v55, v55, v103                               // 000000009BE0: 0A6ECF37
	v_pk_mul_f32 v[4:5], v[56:57], v[56:57]                    // 000000009BE4: D3B14004 18027138
	v_pk_mul_f32 v[6:7], v[58:59], v[58:59]                    // 000000009BEC: D3B14006 1802753A
	v_pk_fma_f32 v[4:5], v[4:5], s[78:79], v[8:9]              // 000000009BF4: D3B04004 1C209D04
	v_pk_fma_f32 v[6:7], v[6:7], s[78:79], v[8:9]              // 000000009BFC: D3B04006 1C209D06
	v_pk_mul_f32 v[4:5], v[4:5], v[56:57]                      // 000000009C04: D3B14004 18027104
	v_pk_mul_f32 v[6:7], v[6:7], v[58:59]                      // 000000009C0C: D3B14006 18027506
	v_pk_mul_f32 v[4:5], v[4:5], s[60:61]                      // 000000009C14: D3B14004 18007904
	v_pk_mul_f32 v[6:7], v[6:7], s[60:61]                      // 000000009C1C: D3B14006 18007906
	v_exp_f32_e32 v4, v4                                       // 000000009C24: 7E084104
	v_exp_f32_e32 v5, v5                                       // 000000009C28: 7E0A4105
	v_exp_f32_e32 v6, v6                                       // 000000009C2C: 7E0C4106
	v_exp_f32_e32 v7, v7                                       // 000000009C30: 7E0E4107
	v_add_f32_e64 v4, v4, 1.0                                  // 000000009C34: D1010004 0001E504
	v_add_f32_e64 v5, v5, 1.0                                  // 000000009C3C: D1010005 0001E505
	v_add_f32_e64 v6, v6, 1.0                                  // 000000009C44: D1010006 0001E506
	v_add_f32_e64 v7, v7, 1.0                                  // 000000009C4C: D1010007 0001E507
	v_rcp_f32_e32 v4, v4                                       // 000000009C54: 7E084504
	v_rcp_f32_e32 v5, v5                                       // 000000009C58: 7E0A4505
	v_rcp_f32_e32 v6, v6                                       // 000000009C5C: 7E0C4506
	v_rcp_f32_e32 v7, v7                                       // 000000009C60: 7E0E4507
	v_mul_f32_e32 v56, v56, v4                                 // 000000009C64: 0A700938
	v_mul_f32_e32 v57, v57, v5                                 // 000000009C68: 0A720B39
	v_mul_f32_e32 v58, v58, v6                                 // 000000009C6C: 0A740D3A
	v_mul_f32_e32 v59, v59, v7                                 // 000000009C70: 0A760F3B
	v_mul_f32_e32 v56, v56, v104                               // 000000009C74: 0A70D138
	v_mul_f32_e32 v57, v57, v105                               // 000000009C78: 0A72D339
	v_mul_f32_e32 v58, v58, v106                               // 000000009C7C: 0A74D53A
	v_mul_f32_e32 v59, v59, v107                               // 000000009C80: 0A76D73B
	v_pk_mul_f32 v[4:5], v[60:61], v[60:61]                    // 000000009C84: D3B14004 1802793C
	v_pk_mul_f32 v[6:7], v[62:63], v[62:63]                    // 000000009C8C: D3B14006 18027D3E
	v_pk_fma_f32 v[4:5], v[4:5], s[78:79], v[8:9]              // 000000009C94: D3B04004 1C209D04
	v_pk_fma_f32 v[6:7], v[6:7], s[78:79], v[8:9]              // 000000009C9C: D3B04006 1C209D06
	v_pk_mul_f32 v[4:5], v[4:5], v[60:61]                      // 000000009CA4: D3B14004 18027904
	v_pk_mul_f32 v[6:7], v[6:7], v[62:63]                      // 000000009CAC: D3B14006 18027D06
	v_pk_mul_f32 v[4:5], v[4:5], s[60:61]                      // 000000009CB4: D3B14004 18007904
	v_pk_mul_f32 v[6:7], v[6:7], s[60:61]                      // 000000009CBC: D3B14006 18007906
	v_exp_f32_e32 v4, v4                                       // 000000009CC4: 7E084104
	v_exp_f32_e32 v5, v5                                       // 000000009CC8: 7E0A4105
	v_exp_f32_e32 v6, v6                                       // 000000009CCC: 7E0C4106
	v_exp_f32_e32 v7, v7                                       // 000000009CD0: 7E0E4107
	v_add_f32_e64 v4, v4, 1.0                                  // 000000009CD4: D1010004 0001E504
	v_add_f32_e64 v5, v5, 1.0                                  // 000000009CDC: D1010005 0001E505
	v_add_f32_e64 v6, v6, 1.0                                  // 000000009CE4: D1010006 0001E506
	v_add_f32_e64 v7, v7, 1.0                                  // 000000009CEC: D1010007 0001E507
	v_rcp_f32_e32 v4, v4                                       // 000000009CF4: 7E084504
	v_rcp_f32_e32 v5, v5                                       // 000000009CF8: 7E0A4505
	v_rcp_f32_e32 v6, v6                                       // 000000009CFC: 7E0C4506
	v_rcp_f32_e32 v7, v7                                       // 000000009D00: 7E0E4507
	v_mul_f32_e32 v60, v60, v4                                 // 000000009D04: 0A78093C
	v_mul_f32_e32 v61, v61, v5                                 // 000000009D08: 0A7A0B3D
	v_mul_f32_e32 v62, v62, v6                                 // 000000009D0C: 0A7C0D3E
	v_mul_f32_e32 v63, v63, v7                                 // 000000009D10: 0A7E0F3F
	v_mul_f32_e32 v60, v60, v108                               // 000000009D14: 0A78D93C
	v_mul_f32_e32 v61, v61, v109                               // 000000009D18: 0A7ADB3D
	v_mul_f32_e32 v62, v62, v110                               // 000000009D1C: 0A7CDD3E
	v_mul_f32_e32 v63, v63, v111                               // 000000009D20: 0A7EDF3F
	v_pk_mul_f32 v[4:5], v[64:65], v[64:65]                    // 000000009D24: D3B14004 18028140
	v_pk_mul_f32 v[6:7], v[66:67], v[66:67]                    // 000000009D2C: D3B14006 18028542
	v_pk_fma_f32 v[4:5], v[4:5], s[78:79], v[8:9]              // 000000009D34: D3B04004 1C209D04
	v_pk_fma_f32 v[6:7], v[6:7], s[78:79], v[8:9]              // 000000009D3C: D3B04006 1C209D06
	v_pk_mul_f32 v[4:5], v[4:5], v[64:65]                      // 000000009D44: D3B14004 18028104
	v_pk_mul_f32 v[6:7], v[6:7], v[66:67]                      // 000000009D4C: D3B14006 18028506
	v_pk_mul_f32 v[4:5], v[4:5], s[60:61]                      // 000000009D54: D3B14004 18007904
	v_pk_mul_f32 v[6:7], v[6:7], s[60:61]                      // 000000009D5C: D3B14006 18007906
	v_exp_f32_e32 v4, v4                                       // 000000009D64: 7E084104
	v_exp_f32_e32 v5, v5                                       // 000000009D68: 7E0A4105
	v_exp_f32_e32 v6, v6                                       // 000000009D6C: 7E0C4106
	v_exp_f32_e32 v7, v7                                       // 000000009D70: 7E0E4107
	v_add_f32_e64 v4, v4, 1.0                                  // 000000009D74: D1010004 0001E504
	v_add_f32_e64 v5, v5, 1.0                                  // 000000009D7C: D1010005 0001E505
	v_add_f32_e64 v6, v6, 1.0                                  // 000000009D84: D1010006 0001E506
	v_add_f32_e64 v7, v7, 1.0                                  // 000000009D8C: D1010007 0001E507
	v_rcp_f32_e32 v4, v4                                       // 000000009D94: 7E084504
	v_rcp_f32_e32 v5, v5                                       // 000000009D98: 7E0A4505
	v_rcp_f32_e32 v6, v6                                       // 000000009D9C: 7E0C4506
	v_rcp_f32_e32 v7, v7                                       // 000000009DA0: 7E0E4507
	v_mul_f32_e32 v64, v64, v4                                 // 000000009DA4: 0A800940
	v_mul_f32_e32 v65, v65, v5                                 // 000000009DA8: 0A820B41
	v_mul_f32_e32 v66, v66, v6                                 // 000000009DAC: 0A840D42
	v_mul_f32_e32 v67, v67, v7                                 // 000000009DB0: 0A860F43
	v_mul_f32_e32 v64, v64, v112                               // 000000009DB4: 0A80E140
	v_mul_f32_e32 v65, v65, v113                               // 000000009DB8: 0A82E341
	v_mul_f32_e32 v66, v66, v114                               // 000000009DBC: 0A84E542
	v_mul_f32_e32 v67, v67, v115                               // 000000009DC0: 0A86E743
	v_pk_mul_f32 v[4:5], v[68:69], v[68:69]                    // 000000009DC4: D3B14004 18028944
	v_pk_mul_f32 v[6:7], v[70:71], v[70:71]                    // 000000009DCC: D3B14006 18028D46
	v_pk_fma_f32 v[4:5], v[4:5], s[78:79], v[8:9]              // 000000009DD4: D3B04004 1C209D04
	v_pk_fma_f32 v[6:7], v[6:7], s[78:79], v[8:9]              // 000000009DDC: D3B04006 1C209D06
	v_pk_mul_f32 v[4:5], v[4:5], v[68:69]                      // 000000009DE4: D3B14004 18028904
	v_pk_mul_f32 v[6:7], v[6:7], v[70:71]                      // 000000009DEC: D3B14006 18028D06
	v_pk_mul_f32 v[4:5], v[4:5], s[60:61]                      // 000000009DF4: D3B14004 18007904
	v_pk_mul_f32 v[6:7], v[6:7], s[60:61]                      // 000000009DFC: D3B14006 18007906
	v_exp_f32_e32 v4, v4                                       // 000000009E04: 7E084104
	v_exp_f32_e32 v5, v5                                       // 000000009E08: 7E0A4105
	v_exp_f32_e32 v6, v6                                       // 000000009E0C: 7E0C4106
	v_exp_f32_e32 v7, v7                                       // 000000009E10: 7E0E4107
	v_add_f32_e64 v4, v4, 1.0                                  // 000000009E14: D1010004 0001E504
	v_add_f32_e64 v5, v5, 1.0                                  // 000000009E1C: D1010005 0001E505
	v_add_f32_e64 v6, v6, 1.0                                  // 000000009E24: D1010006 0001E506
	v_add_f32_e64 v7, v7, 1.0                                  // 000000009E2C: D1010007 0001E507
	v_rcp_f32_e32 v4, v4                                       // 000000009E34: 7E084504
	v_rcp_f32_e32 v5, v5                                       // 000000009E38: 7E0A4505
	v_rcp_f32_e32 v6, v6                                       // 000000009E3C: 7E0C4506
	v_rcp_f32_e32 v7, v7                                       // 000000009E40: 7E0E4507
	v_mul_f32_e32 v68, v68, v4                                 // 000000009E44: 0A880944
	v_mul_f32_e32 v69, v69, v5                                 // 000000009E48: 0A8A0B45
	v_mul_f32_e32 v70, v70, v6                                 // 000000009E4C: 0A8C0D46
	v_mul_f32_e32 v71, v71, v7                                 // 000000009E50: 0A8E0F47
	v_mul_f32_e32 v68, v68, v116                               // 000000009E54: 0A88E944
	v_mul_f32_e32 v69, v69, v117                               // 000000009E58: 0A8AEB45
	v_mul_f32_e32 v70, v70, v118                               // 000000009E5C: 0A8CED46
	v_mul_f32_e32 v71, v71, v119                               // 000000009E60: 0A8EEF47
	v_pk_mul_f32 v[4:5], v[72:73], v[72:73]                    // 000000009E64: D3B14004 18029148
	v_pk_mul_f32 v[6:7], v[74:75], v[74:75]                    // 000000009E6C: D3B14006 1802954A
	v_pk_fma_f32 v[4:5], v[4:5], s[78:79], v[8:9]              // 000000009E74: D3B04004 1C209D04
	v_pk_fma_f32 v[6:7], v[6:7], s[78:79], v[8:9]              // 000000009E7C: D3B04006 1C209D06
	v_pk_mul_f32 v[4:5], v[4:5], v[72:73]                      // 000000009E84: D3B14004 18029104
	v_pk_mul_f32 v[6:7], v[6:7], v[74:75]                      // 000000009E8C: D3B14006 18029506
	v_pk_mul_f32 v[4:5], v[4:5], s[60:61]                      // 000000009E94: D3B14004 18007904
	v_pk_mul_f32 v[6:7], v[6:7], s[60:61]                      // 000000009E9C: D3B14006 18007906
	v_exp_f32_e32 v4, v4                                       // 000000009EA4: 7E084104
	v_exp_f32_e32 v5, v5                                       // 000000009EA8: 7E0A4105
	v_exp_f32_e32 v6, v6                                       // 000000009EAC: 7E0C4106
	v_exp_f32_e32 v7, v7                                       // 000000009EB0: 7E0E4107
	v_add_f32_e64 v4, v4, 1.0                                  // 000000009EB4: D1010004 0001E504
	v_add_f32_e64 v5, v5, 1.0                                  // 000000009EBC: D1010005 0001E505
	v_add_f32_e64 v6, v6, 1.0                                  // 000000009EC4: D1010006 0001E506
	v_add_f32_e64 v7, v7, 1.0                                  // 000000009ECC: D1010007 0001E507
	v_rcp_f32_e32 v4, v4                                       // 000000009ED4: 7E084504
	v_rcp_f32_e32 v5, v5                                       // 000000009ED8: 7E0A4505
	v_rcp_f32_e32 v6, v6                                       // 000000009EDC: 7E0C4506
	v_rcp_f32_e32 v7, v7                                       // 000000009EE0: 7E0E4507
	v_mul_f32_e32 v72, v72, v4                                 // 000000009EE4: 0A900948
	v_mul_f32_e32 v73, v73, v5                                 // 000000009EE8: 0A920B49
	v_mul_f32_e32 v74, v74, v6                                 // 000000009EEC: 0A940D4A
	v_mul_f32_e32 v75, v75, v7                                 // 000000009EF0: 0A960F4B
	v_mul_f32_e32 v72, v72, v120                               // 000000009EF4: 0A90F148
	v_mul_f32_e32 v73, v73, v121                               // 000000009EF8: 0A92F349
	v_mul_f32_e32 v74, v74, v122                               // 000000009EFC: 0A94F54A
	v_mul_f32_e32 v75, v75, v123                               // 000000009F00: 0A96F74B
	v_pk_mul_f32 v[4:5], v[76:77], v[76:77]                    // 000000009F04: D3B14004 1802994C
	v_pk_mul_f32 v[6:7], v[78:79], v[78:79]                    // 000000009F0C: D3B14006 18029D4E
	v_pk_fma_f32 v[4:5], v[4:5], s[78:79], v[8:9]              // 000000009F14: D3B04004 1C209D04
	v_pk_fma_f32 v[6:7], v[6:7], s[78:79], v[8:9]              // 000000009F1C: D3B04006 1C209D06
	v_pk_mul_f32 v[4:5], v[4:5], v[76:77]                      // 000000009F24: D3B14004 18029904
	v_pk_mul_f32 v[6:7], v[6:7], v[78:79]                      // 000000009F2C: D3B14006 18029D06
	v_pk_mul_f32 v[4:5], v[4:5], s[60:61]                      // 000000009F34: D3B14004 18007904
	v_pk_mul_f32 v[6:7], v[6:7], s[60:61]                      // 000000009F3C: D3B14006 18007906
	v_exp_f32_e32 v4, v4                                       // 000000009F44: 7E084104
	v_exp_f32_e32 v5, v5                                       // 000000009F48: 7E0A4105
	v_exp_f32_e32 v6, v6                                       // 000000009F4C: 7E0C4106
	v_exp_f32_e32 v7, v7                                       // 000000009F50: 7E0E4107
	v_add_f32_e64 v4, v4, 1.0                                  // 000000009F54: D1010004 0001E504
	v_add_f32_e64 v5, v5, 1.0                                  // 000000009F5C: D1010005 0001E505
	v_add_f32_e64 v6, v6, 1.0                                  // 000000009F64: D1010006 0001E506
	v_add_f32_e64 v7, v7, 1.0                                  // 000000009F6C: D1010007 0001E507
	v_rcp_f32_e32 v4, v4                                       // 000000009F74: 7E084504
	v_rcp_f32_e32 v5, v5                                       // 000000009F78: 7E0A4505
	v_rcp_f32_e32 v6, v6                                       // 000000009F7C: 7E0C4506
	v_rcp_f32_e32 v7, v7                                       // 000000009F80: 7E0E4507
	v_mul_f32_e32 v76, v76, v4                                 // 000000009F84: 0A98094C
	v_mul_f32_e32 v77, v77, v5                                 // 000000009F88: 0A9A0B4D
	v_mul_f32_e32 v78, v78, v6                                 // 000000009F8C: 0A9C0D4E
	v_mul_f32_e32 v79, v79, v7                                 // 000000009F90: 0A9E0F4F
	v_mul_f32_e32 v76, v76, v124                               // 000000009F94: 0A98F94C
	v_mul_f32_e32 v77, v77, v125                               // 000000009F98: 0A9AFB4D
	v_mul_f32_e32 v78, v78, v126                               // 000000009F9C: 0A9CFD4E
	v_mul_f32_e32 v79, v79, v127                               // 000000009FA0: 0A9EFF4F
	v_pk_mul_f32 v[4:5], v[80:81], v[80:81]                    // 000000009FA4: D3B14004 1802A150
	v_pk_mul_f32 v[6:7], v[82:83], v[82:83]                    // 000000009FAC: D3B14006 1802A552
	v_pk_fma_f32 v[4:5], v[4:5], s[78:79], v[8:9]              // 000000009FB4: D3B04004 1C209D04
	v_pk_fma_f32 v[6:7], v[6:7], s[78:79], v[8:9]              // 000000009FBC: D3B04006 1C209D06
	v_pk_mul_f32 v[4:5], v[4:5], v[80:81]                      // 000000009FC4: D3B14004 1802A104
	v_pk_mul_f32 v[6:7], v[6:7], v[82:83]                      // 000000009FCC: D3B14006 1802A506
	v_pk_mul_f32 v[4:5], v[4:5], s[60:61]                      // 000000009FD4: D3B14004 18007904
	v_pk_mul_f32 v[6:7], v[6:7], s[60:61]                      // 000000009FDC: D3B14006 18007906
	v_exp_f32_e32 v4, v4                                       // 000000009FE4: 7E084104
	v_exp_f32_e32 v5, v5                                       // 000000009FE8: 7E0A4105
	v_exp_f32_e32 v6, v6                                       // 000000009FEC: 7E0C4106
	v_exp_f32_e32 v7, v7                                       // 000000009FF0: 7E0E4107
	v_add_f32_e64 v4, v4, 1.0                                  // 000000009FF4: D1010004 0001E504
	v_add_f32_e64 v5, v5, 1.0                                  // 000000009FFC: D1010005 0001E505
	v_add_f32_e64 v6, v6, 1.0                                  // 00000000A004: D1010006 0001E506
	v_add_f32_e64 v7, v7, 1.0                                  // 00000000A00C: D1010007 0001E507
	v_rcp_f32_e32 v4, v4                                       // 00000000A014: 7E084504
	v_rcp_f32_e32 v5, v5                                       // 00000000A018: 7E0A4505
	v_rcp_f32_e32 v6, v6                                       // 00000000A01C: 7E0C4506
	v_rcp_f32_e32 v7, v7                                       // 00000000A020: 7E0E4507
	v_mul_f32_e32 v80, v80, v4                                 // 00000000A024: 0AA00950
	v_mul_f32_e32 v81, v81, v5                                 // 00000000A028: 0AA20B51
	v_mul_f32_e32 v82, v82, v6                                 // 00000000A02C: 0AA40D52
	v_mul_f32_e32 v83, v83, v7                                 // 00000000A030: 0AA60F53
	v_mul_f32_e32 v80, v80, v128                               // 00000000A034: 0AA10150
	v_mul_f32_e32 v81, v81, v129                               // 00000000A038: 0AA30351
	v_mul_f32_e32 v82, v82, v130                               // 00000000A03C: 0AA50552
	v_mul_f32_e32 v83, v83, v131                               // 00000000A040: 0AA70753
	v_pk_mul_f32 v[4:5], v[84:85], v[84:85]                    // 00000000A044: D3B14004 1802A954
	v_pk_mul_f32 v[6:7], v[86:87], v[86:87]                    // 00000000A04C: D3B14006 1802AD56
	v_pk_fma_f32 v[4:5], v[4:5], s[78:79], v[8:9]              // 00000000A054: D3B04004 1C209D04
	v_pk_fma_f32 v[6:7], v[6:7], s[78:79], v[8:9]              // 00000000A05C: D3B04006 1C209D06
	v_pk_mul_f32 v[4:5], v[4:5], v[84:85]                      // 00000000A064: D3B14004 1802A904
	v_pk_mul_f32 v[6:7], v[6:7], v[86:87]                      // 00000000A06C: D3B14006 1802AD06
	v_pk_mul_f32 v[4:5], v[4:5], s[60:61]                      // 00000000A074: D3B14004 18007904
	v_pk_mul_f32 v[6:7], v[6:7], s[60:61]                      // 00000000A07C: D3B14006 18007906
	v_exp_f32_e32 v4, v4                                       // 00000000A084: 7E084104
	v_exp_f32_e32 v5, v5                                       // 00000000A088: 7E0A4105
	v_exp_f32_e32 v6, v6                                       // 00000000A08C: 7E0C4106
	v_exp_f32_e32 v7, v7                                       // 00000000A090: 7E0E4107
	v_add_f32_e64 v4, v4, 1.0                                  // 00000000A094: D1010004 0001E504
	v_add_f32_e64 v5, v5, 1.0                                  // 00000000A09C: D1010005 0001E505
	v_add_f32_e64 v6, v6, 1.0                                  // 00000000A0A4: D1010006 0001E506
	v_add_f32_e64 v7, v7, 1.0                                  // 00000000A0AC: D1010007 0001E507
	v_rcp_f32_e32 v4, v4                                       // 00000000A0B4: 7E084504
	v_rcp_f32_e32 v5, v5                                       // 00000000A0B8: 7E0A4505
	v_rcp_f32_e32 v6, v6                                       // 00000000A0BC: 7E0C4506
	v_rcp_f32_e32 v7, v7                                       // 00000000A0C0: 7E0E4507
	v_mul_f32_e32 v84, v84, v4                                 // 00000000A0C4: 0AA80954
	v_mul_f32_e32 v85, v85, v5                                 // 00000000A0C8: 0AAA0B55
	v_mul_f32_e32 v86, v86, v6                                 // 00000000A0CC: 0AAC0D56
	v_mul_f32_e32 v87, v87, v7                                 // 00000000A0D0: 0AAE0F57
	v_mul_f32_e32 v84, v84, v132                               // 00000000A0D4: 0AA90954
	v_mul_f32_e32 v85, v85, v133                               // 00000000A0D8: 0AAB0B55
	v_mul_f32_e32 v86, v86, v134                               // 00000000A0DC: 0AAD0D56
	v_mul_f32_e32 v87, v87, v135                               // 00000000A0E0: 0AAF0F57
	v_pk_mul_f32 v[4:5], v[88:89], v[88:89]                    // 00000000A0E4: D3B14004 1802B158
	v_pk_mul_f32 v[6:7], v[90:91], v[90:91]                    // 00000000A0EC: D3B14006 1802B55A
	v_pk_fma_f32 v[4:5], v[4:5], s[78:79], v[8:9]              // 00000000A0F4: D3B04004 1C209D04
	v_pk_fma_f32 v[6:7], v[6:7], s[78:79], v[8:9]              // 00000000A0FC: D3B04006 1C209D06
	v_pk_mul_f32 v[4:5], v[4:5], v[88:89]                      // 00000000A104: D3B14004 1802B104
	v_pk_mul_f32 v[6:7], v[6:7], v[90:91]                      // 00000000A10C: D3B14006 1802B506
	v_pk_mul_f32 v[4:5], v[4:5], s[60:61]                      // 00000000A114: D3B14004 18007904
	v_pk_mul_f32 v[6:7], v[6:7], s[60:61]                      // 00000000A11C: D3B14006 18007906
	v_exp_f32_e32 v4, v4                                       // 00000000A124: 7E084104
	v_exp_f32_e32 v5, v5                                       // 00000000A128: 7E0A4105
	v_exp_f32_e32 v6, v6                                       // 00000000A12C: 7E0C4106
	v_exp_f32_e32 v7, v7                                       // 00000000A130: 7E0E4107
	v_add_f32_e64 v4, v4, 1.0                                  // 00000000A134: D1010004 0001E504
	v_add_f32_e64 v5, v5, 1.0                                  // 00000000A13C: D1010005 0001E505
	v_add_f32_e64 v6, v6, 1.0                                  // 00000000A144: D1010006 0001E506
	v_add_f32_e64 v7, v7, 1.0                                  // 00000000A14C: D1010007 0001E507
	v_rcp_f32_e32 v4, v4                                       // 00000000A154: 7E084504
	v_rcp_f32_e32 v5, v5                                       // 00000000A158: 7E0A4505
	v_rcp_f32_e32 v6, v6                                       // 00000000A15C: 7E0C4506
	v_rcp_f32_e32 v7, v7                                       // 00000000A160: 7E0E4507
	v_mul_f32_e32 v88, v88, v4                                 // 00000000A164: 0AB00958
	v_mul_f32_e32 v89, v89, v5                                 // 00000000A168: 0AB20B59
	v_mul_f32_e32 v90, v90, v6                                 // 00000000A16C: 0AB40D5A
	v_mul_f32_e32 v91, v91, v7                                 // 00000000A170: 0AB60F5B
	v_mul_f32_e32 v88, v88, v136                               // 00000000A174: 0AB11158
	v_mul_f32_e32 v89, v89, v137                               // 00000000A178: 0AB31359
	v_mul_f32_e32 v90, v90, v138                               // 00000000A17C: 0AB5155A
	v_mul_f32_e32 v91, v91, v139                               // 00000000A180: 0AB7175B
	v_pk_mul_f32 v[4:5], v[92:93], v[92:93]                    // 00000000A184: D3B14004 1802B95C
	v_pk_mul_f32 v[6:7], v[94:95], v[94:95]                    // 00000000A18C: D3B14006 1802BD5E
	v_pk_fma_f32 v[4:5], v[4:5], s[78:79], v[8:9]              // 00000000A194: D3B04004 1C209D04
	v_pk_fma_f32 v[6:7], v[6:7], s[78:79], v[8:9]              // 00000000A19C: D3B04006 1C209D06
	v_pk_mul_f32 v[4:5], v[4:5], v[92:93]                      // 00000000A1A4: D3B14004 1802B904
	v_pk_mul_f32 v[6:7], v[6:7], v[94:95]                      // 00000000A1AC: D3B14006 1802BD06
	v_pk_mul_f32 v[4:5], v[4:5], s[60:61]                      // 00000000A1B4: D3B14004 18007904
	v_pk_mul_f32 v[6:7], v[6:7], s[60:61]                      // 00000000A1BC: D3B14006 18007906
	v_exp_f32_e32 v4, v4                                       // 00000000A1C4: 7E084104
	v_exp_f32_e32 v5, v5                                       // 00000000A1C8: 7E0A4105
	v_exp_f32_e32 v6, v6                                       // 00000000A1CC: 7E0C4106
	v_exp_f32_e32 v7, v7                                       // 00000000A1D0: 7E0E4107
	v_add_f32_e64 v4, v4, 1.0                                  // 00000000A1D4: D1010004 0001E504
	v_add_f32_e64 v5, v5, 1.0                                  // 00000000A1DC: D1010005 0001E505
	v_add_f32_e64 v6, v6, 1.0                                  // 00000000A1E4: D1010006 0001E506
	v_add_f32_e64 v7, v7, 1.0                                  // 00000000A1EC: D1010007 0001E507
	v_rcp_f32_e32 v4, v4                                       // 00000000A1F4: 7E084504
	v_rcp_f32_e32 v5, v5                                       // 00000000A1F8: 7E0A4505
	v_rcp_f32_e32 v6, v6                                       // 00000000A1FC: 7E0C4506
	v_rcp_f32_e32 v7, v7                                       // 00000000A200: 7E0E4507
	v_mul_f32_e32 v92, v92, v4                                 // 00000000A204: 0AB8095C
	v_mul_f32_e32 v93, v93, v5                                 // 00000000A208: 0ABA0B5D
	v_mul_f32_e32 v94, v94, v6                                 // 00000000A20C: 0ABC0D5E
	v_mul_f32_e32 v95, v95, v7                                 // 00000000A210: 0ABE0F5F
	v_mul_f32_e32 v92, v92, v140                               // 00000000A214: 0AB9195C
	v_mul_f32_e32 v93, v93, v141                               // 00000000A218: 0ABB1B5D
	v_mul_f32_e32 v94, v94, v142                               // 00000000A21C: 0ABD1D5E
	v_mul_f32_e32 v95, v95, v143                               // 00000000A220: 0ABF1F5F
	v_pk_mul_f32 v[4:5], v[96:97], v[96:97]                    // 00000000A224: D3B14004 1802C160
	v_pk_mul_f32 v[6:7], v[98:99], v[98:99]                    // 00000000A22C: D3B14006 1802C562
	v_pk_fma_f32 v[4:5], v[4:5], s[78:79], v[8:9]              // 00000000A234: D3B04004 1C209D04
	v_pk_fma_f32 v[6:7], v[6:7], s[78:79], v[8:9]              // 00000000A23C: D3B04006 1C209D06
	v_pk_mul_f32 v[4:5], v[4:5], v[96:97]                      // 00000000A244: D3B14004 1802C104
	v_pk_mul_f32 v[6:7], v[6:7], v[98:99]                      // 00000000A24C: D3B14006 1802C506
	v_pk_mul_f32 v[4:5], v[4:5], s[60:61]                      // 00000000A254: D3B14004 18007904
	v_pk_mul_f32 v[6:7], v[6:7], s[60:61]                      // 00000000A25C: D3B14006 18007906
	v_exp_f32_e32 v4, v4                                       // 00000000A264: 7E084104
	v_exp_f32_e32 v5, v5                                       // 00000000A268: 7E0A4105
	v_exp_f32_e32 v6, v6                                       // 00000000A26C: 7E0C4106
	v_exp_f32_e32 v7, v7                                       // 00000000A270: 7E0E4107
	v_add_f32_e64 v4, v4, 1.0                                  // 00000000A274: D1010004 0001E504
	v_add_f32_e64 v5, v5, 1.0                                  // 00000000A27C: D1010005 0001E505
	v_add_f32_e64 v6, v6, 1.0                                  // 00000000A284: D1010006 0001E506
	v_add_f32_e64 v7, v7, 1.0                                  // 00000000A28C: D1010007 0001E507
	v_rcp_f32_e32 v4, v4                                       // 00000000A294: 7E084504
	v_rcp_f32_e32 v5, v5                                       // 00000000A298: 7E0A4505
	v_rcp_f32_e32 v6, v6                                       // 00000000A29C: 7E0C4506
	v_rcp_f32_e32 v7, v7                                       // 00000000A2A0: 7E0E4507
	v_mul_f32_e32 v96, v96, v4                                 // 00000000A2A4: 0AC00960
	v_mul_f32_e32 v97, v97, v5                                 // 00000000A2A8: 0AC20B61
	v_mul_f32_e32 v98, v98, v6                                 // 00000000A2AC: 0AC40D62
	v_mul_f32_e32 v99, v99, v7                                 // 00000000A2B0: 0AC60F63
	v_mul_f32_e32 v96, v96, v144                               // 00000000A2B4: 0AC12160
	v_mul_f32_e32 v97, v97, v145                               // 00000000A2B8: 0AC32361
	v_mul_f32_e32 v98, v98, v146                               // 00000000A2BC: 0AC52562
	v_mul_f32_e32 v99, v99, v147                               // 00000000A2C0: 0AC72763
	s_branch label_1FB5                                        // 00000000A2C4: BF820180

000000000000a2c8 <label_1E35>:
	v_mul_f32_e64 v4, -v52, s6                                 // 00000000A2C8: D1050004 20000D34
	v_mul_f32_e64 v5, -v53, s6                                 // 00000000A2D0: D1050005 20000D35
	v_mul_f32_e64 v6, -v54, s6                                 // 00000000A2D8: D1050006 20000D36
	v_mul_f32_e64 v7, -v55, s6                                 // 00000000A2E0: D1050007 20000D37
	v_exp_f32_e32 v4, v4                                       // 00000000A2E8: 7E084104
	v_exp_f32_e32 v5, v5                                       // 00000000A2EC: 7E0A4105
	v_exp_f32_e32 v6, v6                                       // 00000000A2F0: 7E0C4106
	v_exp_f32_e32 v7, v7                                       // 00000000A2F4: 7E0E4107
	v_add_f32_e64 v4, v4, 1.0                                  // 00000000A2F8: D1010004 0001E504
	v_add_f32_e64 v5, v5, 1.0                                  // 00000000A300: D1010005 0001E505
	v_add_f32_e64 v6, v6, 1.0                                  // 00000000A308: D1010006 0001E506
	v_add_f32_e64 v7, v7, 1.0                                  // 00000000A310: D1010007 0001E507
	v_rcp_f32_e32 v4, v4                                       // 00000000A318: 7E084504
	v_rcp_f32_e32 v5, v5                                       // 00000000A31C: 7E0A4505
	v_rcp_f32_e32 v6, v6                                       // 00000000A320: 7E0C4506
	v_rcp_f32_e32 v7, v7                                       // 00000000A324: 7E0E4507
	v_mul_f32_e32 v52, v52, v4                                 // 00000000A328: 0A680934
	v_mul_f32_e32 v53, v53, v5                                 // 00000000A32C: 0A6A0B35
	v_mul_f32_e32 v54, v54, v6                                 // 00000000A330: 0A6C0D36
	v_mul_f32_e32 v55, v55, v7                                 // 00000000A334: 0A6E0F37
	v_mul_f32_e32 v52, v52, v100                               // 00000000A338: 0A68C934
	v_mul_f32_e32 v53, v53, v101                               // 00000000A33C: 0A6ACB35
	v_mul_f32_e32 v54, v54, v102                               // 00000000A340: 0A6CCD36
	v_mul_f32_e32 v55, v55, v103                               // 00000000A344: 0A6ECF37
	v_mul_f32_e64 v4, -v56, s6                                 // 00000000A348: D1050004 20000D38
	v_mul_f32_e64 v5, -v57, s6                                 // 00000000A350: D1050005 20000D39
	v_mul_f32_e64 v6, -v58, s6                                 // 00000000A358: D1050006 20000D3A
	v_mul_f32_e64 v7, -v59, s6                                 // 00000000A360: D1050007 20000D3B
	v_exp_f32_e32 v4, v4                                       // 00000000A368: 7E084104
	v_exp_f32_e32 v5, v5                                       // 00000000A36C: 7E0A4105
	v_exp_f32_e32 v6, v6                                       // 00000000A370: 7E0C4106
	v_exp_f32_e32 v7, v7                                       // 00000000A374: 7E0E4107
	v_add_f32_e64 v4, v4, 1.0                                  // 00000000A378: D1010004 0001E504
	v_add_f32_e64 v5, v5, 1.0                                  // 00000000A380: D1010005 0001E505
	v_add_f32_e64 v6, v6, 1.0                                  // 00000000A388: D1010006 0001E506
	v_add_f32_e64 v7, v7, 1.0                                  // 00000000A390: D1010007 0001E507
	v_rcp_f32_e32 v4, v4                                       // 00000000A398: 7E084504
	v_rcp_f32_e32 v5, v5                                       // 00000000A39C: 7E0A4505
	v_rcp_f32_e32 v6, v6                                       // 00000000A3A0: 7E0C4506
	v_rcp_f32_e32 v7, v7                                       // 00000000A3A4: 7E0E4507
	v_mul_f32_e32 v56, v56, v4                                 // 00000000A3A8: 0A700938
	v_mul_f32_e32 v57, v57, v5                                 // 00000000A3AC: 0A720B39
	v_mul_f32_e32 v58, v58, v6                                 // 00000000A3B0: 0A740D3A
	v_mul_f32_e32 v59, v59, v7                                 // 00000000A3B4: 0A760F3B
	v_mul_f32_e32 v56, v56, v104                               // 00000000A3B8: 0A70D138
	v_mul_f32_e32 v57, v57, v105                               // 00000000A3BC: 0A72D339
	v_mul_f32_e32 v58, v58, v106                               // 00000000A3C0: 0A74D53A
	v_mul_f32_e32 v59, v59, v107                               // 00000000A3C4: 0A76D73B
	v_mul_f32_e64 v4, -v60, s6                                 // 00000000A3C8: D1050004 20000D3C
	v_mul_f32_e64 v5, -v61, s6                                 // 00000000A3D0: D1050005 20000D3D
	v_mul_f32_e64 v6, -v62, s6                                 // 00000000A3D8: D1050006 20000D3E
	v_mul_f32_e64 v7, -v63, s6                                 // 00000000A3E0: D1050007 20000D3F
	v_exp_f32_e32 v4, v4                                       // 00000000A3E8: 7E084104
	v_exp_f32_e32 v5, v5                                       // 00000000A3EC: 7E0A4105
	v_exp_f32_e32 v6, v6                                       // 00000000A3F0: 7E0C4106
	v_exp_f32_e32 v7, v7                                       // 00000000A3F4: 7E0E4107
	v_add_f32_e64 v4, v4, 1.0                                  // 00000000A3F8: D1010004 0001E504
	v_add_f32_e64 v5, v5, 1.0                                  // 00000000A400: D1010005 0001E505
	v_add_f32_e64 v6, v6, 1.0                                  // 00000000A408: D1010006 0001E506
	v_add_f32_e64 v7, v7, 1.0                                  // 00000000A410: D1010007 0001E507
	v_rcp_f32_e32 v4, v4                                       // 00000000A418: 7E084504
	v_rcp_f32_e32 v5, v5                                       // 00000000A41C: 7E0A4505
	v_rcp_f32_e32 v6, v6                                       // 00000000A420: 7E0C4506
	v_rcp_f32_e32 v7, v7                                       // 00000000A424: 7E0E4507
	v_mul_f32_e32 v60, v60, v4                                 // 00000000A428: 0A78093C
	v_mul_f32_e32 v61, v61, v5                                 // 00000000A42C: 0A7A0B3D
	v_mul_f32_e32 v62, v62, v6                                 // 00000000A430: 0A7C0D3E
	v_mul_f32_e32 v63, v63, v7                                 // 00000000A434: 0A7E0F3F
	v_mul_f32_e32 v60, v60, v108                               // 00000000A438: 0A78D93C
	v_mul_f32_e32 v61, v61, v109                               // 00000000A43C: 0A7ADB3D
	v_mul_f32_e32 v62, v62, v110                               // 00000000A440: 0A7CDD3E
	v_mul_f32_e32 v63, v63, v111                               // 00000000A444: 0A7EDF3F
	v_mul_f32_e64 v4, -v64, s6                                 // 00000000A448: D1050004 20000D40
	v_mul_f32_e64 v5, -v65, s6                                 // 00000000A450: D1050005 20000D41
	v_mul_f32_e64 v6, -v66, s6                                 // 00000000A458: D1050006 20000D42
	v_mul_f32_e64 v7, -v67, s6                                 // 00000000A460: D1050007 20000D43
	v_exp_f32_e32 v4, v4                                       // 00000000A468: 7E084104
	v_exp_f32_e32 v5, v5                                       // 00000000A46C: 7E0A4105
	v_exp_f32_e32 v6, v6                                       // 00000000A470: 7E0C4106
	v_exp_f32_e32 v7, v7                                       // 00000000A474: 7E0E4107
	v_add_f32_e64 v4, v4, 1.0                                  // 00000000A478: D1010004 0001E504
	v_add_f32_e64 v5, v5, 1.0                                  // 00000000A480: D1010005 0001E505
	v_add_f32_e64 v6, v6, 1.0                                  // 00000000A488: D1010006 0001E506
	v_add_f32_e64 v7, v7, 1.0                                  // 00000000A490: D1010007 0001E507
	v_rcp_f32_e32 v4, v4                                       // 00000000A498: 7E084504
	v_rcp_f32_e32 v5, v5                                       // 00000000A49C: 7E0A4505
	v_rcp_f32_e32 v6, v6                                       // 00000000A4A0: 7E0C4506
	v_rcp_f32_e32 v7, v7                                       // 00000000A4A4: 7E0E4507
	v_mul_f32_e32 v64, v64, v4                                 // 00000000A4A8: 0A800940
	v_mul_f32_e32 v65, v65, v5                                 // 00000000A4AC: 0A820B41
	v_mul_f32_e32 v66, v66, v6                                 // 00000000A4B0: 0A840D42
	v_mul_f32_e32 v67, v67, v7                                 // 00000000A4B4: 0A860F43
	v_mul_f32_e32 v64, v64, v112                               // 00000000A4B8: 0A80E140
	v_mul_f32_e32 v65, v65, v113                               // 00000000A4BC: 0A82E341
	v_mul_f32_e32 v66, v66, v114                               // 00000000A4C0: 0A84E542
	v_mul_f32_e32 v67, v67, v115                               // 00000000A4C4: 0A86E743
	v_mul_f32_e64 v4, -v68, s6                                 // 00000000A4C8: D1050004 20000D44
	v_mul_f32_e64 v5, -v69, s6                                 // 00000000A4D0: D1050005 20000D45
	v_mul_f32_e64 v6, -v70, s6                                 // 00000000A4D8: D1050006 20000D46
	v_mul_f32_e64 v7, -v71, s6                                 // 00000000A4E0: D1050007 20000D47
	v_exp_f32_e32 v4, v4                                       // 00000000A4E8: 7E084104
	v_exp_f32_e32 v5, v5                                       // 00000000A4EC: 7E0A4105
	v_exp_f32_e32 v6, v6                                       // 00000000A4F0: 7E0C4106
	v_exp_f32_e32 v7, v7                                       // 00000000A4F4: 7E0E4107
	v_add_f32_e64 v4, v4, 1.0                                  // 00000000A4F8: D1010004 0001E504
	v_add_f32_e64 v5, v5, 1.0                                  // 00000000A500: D1010005 0001E505
	v_add_f32_e64 v6, v6, 1.0                                  // 00000000A508: D1010006 0001E506
	v_add_f32_e64 v7, v7, 1.0                                  // 00000000A510: D1010007 0001E507
	v_rcp_f32_e32 v4, v4                                       // 00000000A518: 7E084504
	v_rcp_f32_e32 v5, v5                                       // 00000000A51C: 7E0A4505
	v_rcp_f32_e32 v6, v6                                       // 00000000A520: 7E0C4506
	v_rcp_f32_e32 v7, v7                                       // 00000000A524: 7E0E4507
	v_mul_f32_e32 v68, v68, v4                                 // 00000000A528: 0A880944
	v_mul_f32_e32 v69, v69, v5                                 // 00000000A52C: 0A8A0B45
	v_mul_f32_e32 v70, v70, v6                                 // 00000000A530: 0A8C0D46
	v_mul_f32_e32 v71, v71, v7                                 // 00000000A534: 0A8E0F47
	v_mul_f32_e32 v68, v68, v116                               // 00000000A538: 0A88E944
	v_mul_f32_e32 v69, v69, v117                               // 00000000A53C: 0A8AEB45
	v_mul_f32_e32 v70, v70, v118                               // 00000000A540: 0A8CED46
	v_mul_f32_e32 v71, v71, v119                               // 00000000A544: 0A8EEF47
	v_mul_f32_e64 v4, -v72, s6                                 // 00000000A548: D1050004 20000D48
	v_mul_f32_e64 v5, -v73, s6                                 // 00000000A550: D1050005 20000D49
	v_mul_f32_e64 v6, -v74, s6                                 // 00000000A558: D1050006 20000D4A
	v_mul_f32_e64 v7, -v75, s6                                 // 00000000A560: D1050007 20000D4B
	v_exp_f32_e32 v4, v4                                       // 00000000A568: 7E084104
	v_exp_f32_e32 v5, v5                                       // 00000000A56C: 7E0A4105
	v_exp_f32_e32 v6, v6                                       // 00000000A570: 7E0C4106
	v_exp_f32_e32 v7, v7                                       // 00000000A574: 7E0E4107
	v_add_f32_e64 v4, v4, 1.0                                  // 00000000A578: D1010004 0001E504
	v_add_f32_e64 v5, v5, 1.0                                  // 00000000A580: D1010005 0001E505
	v_add_f32_e64 v6, v6, 1.0                                  // 00000000A588: D1010006 0001E506
	v_add_f32_e64 v7, v7, 1.0                                  // 00000000A590: D1010007 0001E507
	v_rcp_f32_e32 v4, v4                                       // 00000000A598: 7E084504
	v_rcp_f32_e32 v5, v5                                       // 00000000A59C: 7E0A4505
	v_rcp_f32_e32 v6, v6                                       // 00000000A5A0: 7E0C4506
	v_rcp_f32_e32 v7, v7                                       // 00000000A5A4: 7E0E4507
	v_mul_f32_e32 v72, v72, v4                                 // 00000000A5A8: 0A900948
	v_mul_f32_e32 v73, v73, v5                                 // 00000000A5AC: 0A920B49
	v_mul_f32_e32 v74, v74, v6                                 // 00000000A5B0: 0A940D4A
	v_mul_f32_e32 v75, v75, v7                                 // 00000000A5B4: 0A960F4B
	v_mul_f32_e32 v72, v72, v120                               // 00000000A5B8: 0A90F148
	v_mul_f32_e32 v73, v73, v121                               // 00000000A5BC: 0A92F349
	v_mul_f32_e32 v74, v74, v122                               // 00000000A5C0: 0A94F54A
	v_mul_f32_e32 v75, v75, v123                               // 00000000A5C4: 0A96F74B
	v_mul_f32_e64 v4, -v76, s6                                 // 00000000A5C8: D1050004 20000D4C
	v_mul_f32_e64 v5, -v77, s6                                 // 00000000A5D0: D1050005 20000D4D
	v_mul_f32_e64 v6, -v78, s6                                 // 00000000A5D8: D1050006 20000D4E
	v_mul_f32_e64 v7, -v79, s6                                 // 00000000A5E0: D1050007 20000D4F
	v_exp_f32_e32 v4, v4                                       // 00000000A5E8: 7E084104
	v_exp_f32_e32 v5, v5                                       // 00000000A5EC: 7E0A4105
	v_exp_f32_e32 v6, v6                                       // 00000000A5F0: 7E0C4106
	v_exp_f32_e32 v7, v7                                       // 00000000A5F4: 7E0E4107
	v_add_f32_e64 v4, v4, 1.0                                  // 00000000A5F8: D1010004 0001E504
	v_add_f32_e64 v5, v5, 1.0                                  // 00000000A600: D1010005 0001E505
	v_add_f32_e64 v6, v6, 1.0                                  // 00000000A608: D1010006 0001E506
	v_add_f32_e64 v7, v7, 1.0                                  // 00000000A610: D1010007 0001E507
	v_rcp_f32_e32 v4, v4                                       // 00000000A618: 7E084504
	v_rcp_f32_e32 v5, v5                                       // 00000000A61C: 7E0A4505
	v_rcp_f32_e32 v6, v6                                       // 00000000A620: 7E0C4506
	v_rcp_f32_e32 v7, v7                                       // 00000000A624: 7E0E4507
	v_mul_f32_e32 v76, v76, v4                                 // 00000000A628: 0A98094C
	v_mul_f32_e32 v77, v77, v5                                 // 00000000A62C: 0A9A0B4D
	v_mul_f32_e32 v78, v78, v6                                 // 00000000A630: 0A9C0D4E
	v_mul_f32_e32 v79, v79, v7                                 // 00000000A634: 0A9E0F4F
	v_mul_f32_e32 v76, v76, v124                               // 00000000A638: 0A98F94C
	v_mul_f32_e32 v77, v77, v125                               // 00000000A63C: 0A9AFB4D
	v_mul_f32_e32 v78, v78, v126                               // 00000000A640: 0A9CFD4E
	v_mul_f32_e32 v79, v79, v127                               // 00000000A644: 0A9EFF4F
	v_mul_f32_e64 v4, -v80, s6                                 // 00000000A648: D1050004 20000D50
	v_mul_f32_e64 v5, -v81, s6                                 // 00000000A650: D1050005 20000D51
	v_mul_f32_e64 v6, -v82, s6                                 // 00000000A658: D1050006 20000D52
	v_mul_f32_e64 v7, -v83, s6                                 // 00000000A660: D1050007 20000D53
	v_exp_f32_e32 v4, v4                                       // 00000000A668: 7E084104
	v_exp_f32_e32 v5, v5                                       // 00000000A66C: 7E0A4105
	v_exp_f32_e32 v6, v6                                       // 00000000A670: 7E0C4106
	v_exp_f32_e32 v7, v7                                       // 00000000A674: 7E0E4107
	v_add_f32_e64 v4, v4, 1.0                                  // 00000000A678: D1010004 0001E504
	v_add_f32_e64 v5, v5, 1.0                                  // 00000000A680: D1010005 0001E505
	v_add_f32_e64 v6, v6, 1.0                                  // 00000000A688: D1010006 0001E506
	v_add_f32_e64 v7, v7, 1.0                                  // 00000000A690: D1010007 0001E507
	v_rcp_f32_e32 v4, v4                                       // 00000000A698: 7E084504
	v_rcp_f32_e32 v5, v5                                       // 00000000A69C: 7E0A4505
	v_rcp_f32_e32 v6, v6                                       // 00000000A6A0: 7E0C4506
	v_rcp_f32_e32 v7, v7                                       // 00000000A6A4: 7E0E4507
	v_mul_f32_e32 v80, v80, v4                                 // 00000000A6A8: 0AA00950
	v_mul_f32_e32 v81, v81, v5                                 // 00000000A6AC: 0AA20B51
	v_mul_f32_e32 v82, v82, v6                                 // 00000000A6B0: 0AA40D52
	v_mul_f32_e32 v83, v83, v7                                 // 00000000A6B4: 0AA60F53
	v_mul_f32_e32 v80, v80, v128                               // 00000000A6B8: 0AA10150
	v_mul_f32_e32 v81, v81, v129                               // 00000000A6BC: 0AA30351
	v_mul_f32_e32 v82, v82, v130                               // 00000000A6C0: 0AA50552
	v_mul_f32_e32 v83, v83, v131                               // 00000000A6C4: 0AA70753
	v_mul_f32_e64 v4, -v84, s6                                 // 00000000A6C8: D1050004 20000D54
	v_mul_f32_e64 v5, -v85, s6                                 // 00000000A6D0: D1050005 20000D55
	v_mul_f32_e64 v6, -v86, s6                                 // 00000000A6D8: D1050006 20000D56
	v_mul_f32_e64 v7, -v87, s6                                 // 00000000A6E0: D1050007 20000D57
	v_exp_f32_e32 v4, v4                                       // 00000000A6E8: 7E084104
	v_exp_f32_e32 v5, v5                                       // 00000000A6EC: 7E0A4105
	v_exp_f32_e32 v6, v6                                       // 00000000A6F0: 7E0C4106
	v_exp_f32_e32 v7, v7                                       // 00000000A6F4: 7E0E4107
	v_add_f32_e64 v4, v4, 1.0                                  // 00000000A6F8: D1010004 0001E504
	v_add_f32_e64 v5, v5, 1.0                                  // 00000000A700: D1010005 0001E505
	v_add_f32_e64 v6, v6, 1.0                                  // 00000000A708: D1010006 0001E506
	v_add_f32_e64 v7, v7, 1.0                                  // 00000000A710: D1010007 0001E507
	v_rcp_f32_e32 v4, v4                                       // 00000000A718: 7E084504
	v_rcp_f32_e32 v5, v5                                       // 00000000A71C: 7E0A4505
	v_rcp_f32_e32 v6, v6                                       // 00000000A720: 7E0C4506
	v_rcp_f32_e32 v7, v7                                       // 00000000A724: 7E0E4507
	v_mul_f32_e32 v84, v84, v4                                 // 00000000A728: 0AA80954
	v_mul_f32_e32 v85, v85, v5                                 // 00000000A72C: 0AAA0B55
	v_mul_f32_e32 v86, v86, v6                                 // 00000000A730: 0AAC0D56
	v_mul_f32_e32 v87, v87, v7                                 // 00000000A734: 0AAE0F57
	v_mul_f32_e32 v84, v84, v132                               // 00000000A738: 0AA90954
	v_mul_f32_e32 v85, v85, v133                               // 00000000A73C: 0AAB0B55
	v_mul_f32_e32 v86, v86, v134                               // 00000000A740: 0AAD0D56
	v_mul_f32_e32 v87, v87, v135                               // 00000000A744: 0AAF0F57
	v_mul_f32_e64 v4, -v88, s6                                 // 00000000A748: D1050004 20000D58
	v_mul_f32_e64 v5, -v89, s6                                 // 00000000A750: D1050005 20000D59
	v_mul_f32_e64 v6, -v90, s6                                 // 00000000A758: D1050006 20000D5A
	v_mul_f32_e64 v7, -v91, s6                                 // 00000000A760: D1050007 20000D5B
	v_exp_f32_e32 v4, v4                                       // 00000000A768: 7E084104
	v_exp_f32_e32 v5, v5                                       // 00000000A76C: 7E0A4105
	v_exp_f32_e32 v6, v6                                       // 00000000A770: 7E0C4106
	v_exp_f32_e32 v7, v7                                       // 00000000A774: 7E0E4107
	v_add_f32_e64 v4, v4, 1.0                                  // 00000000A778: D1010004 0001E504
	v_add_f32_e64 v5, v5, 1.0                                  // 00000000A780: D1010005 0001E505
	v_add_f32_e64 v6, v6, 1.0                                  // 00000000A788: D1010006 0001E506
	v_add_f32_e64 v7, v7, 1.0                                  // 00000000A790: D1010007 0001E507
	v_rcp_f32_e32 v4, v4                                       // 00000000A798: 7E084504
	v_rcp_f32_e32 v5, v5                                       // 00000000A79C: 7E0A4505
	v_rcp_f32_e32 v6, v6                                       // 00000000A7A0: 7E0C4506
	v_rcp_f32_e32 v7, v7                                       // 00000000A7A4: 7E0E4507
	v_mul_f32_e32 v88, v88, v4                                 // 00000000A7A8: 0AB00958
	v_mul_f32_e32 v89, v89, v5                                 // 00000000A7AC: 0AB20B59
	v_mul_f32_e32 v90, v90, v6                                 // 00000000A7B0: 0AB40D5A
	v_mul_f32_e32 v91, v91, v7                                 // 00000000A7B4: 0AB60F5B
	v_mul_f32_e32 v88, v88, v136                               // 00000000A7B8: 0AB11158
	v_mul_f32_e32 v89, v89, v137                               // 00000000A7BC: 0AB31359
	v_mul_f32_e32 v90, v90, v138                               // 00000000A7C0: 0AB5155A
	v_mul_f32_e32 v91, v91, v139                               // 00000000A7C4: 0AB7175B
	v_mul_f32_e64 v4, -v92, s6                                 // 00000000A7C8: D1050004 20000D5C
	v_mul_f32_e64 v5, -v93, s6                                 // 00000000A7D0: D1050005 20000D5D
	v_mul_f32_e64 v6, -v94, s6                                 // 00000000A7D8: D1050006 20000D5E
	v_mul_f32_e64 v7, -v95, s6                                 // 00000000A7E0: D1050007 20000D5F
	v_exp_f32_e32 v4, v4                                       // 00000000A7E8: 7E084104
	v_exp_f32_e32 v5, v5                                       // 00000000A7EC: 7E0A4105
	v_exp_f32_e32 v6, v6                                       // 00000000A7F0: 7E0C4106
	v_exp_f32_e32 v7, v7                                       // 00000000A7F4: 7E0E4107
	v_add_f32_e64 v4, v4, 1.0                                  // 00000000A7F8: D1010004 0001E504
	v_add_f32_e64 v5, v5, 1.0                                  // 00000000A800: D1010005 0001E505
	v_add_f32_e64 v6, v6, 1.0                                  // 00000000A808: D1010006 0001E506
	v_add_f32_e64 v7, v7, 1.0                                  // 00000000A810: D1010007 0001E507
	v_rcp_f32_e32 v4, v4                                       // 00000000A818: 7E084504
	v_rcp_f32_e32 v5, v5                                       // 00000000A81C: 7E0A4505
	v_rcp_f32_e32 v6, v6                                       // 00000000A820: 7E0C4506
	v_rcp_f32_e32 v7, v7                                       // 00000000A824: 7E0E4507
	v_mul_f32_e32 v92, v92, v4                                 // 00000000A828: 0AB8095C
	v_mul_f32_e32 v93, v93, v5                                 // 00000000A82C: 0ABA0B5D
	v_mul_f32_e32 v94, v94, v6                                 // 00000000A830: 0ABC0D5E
	v_mul_f32_e32 v95, v95, v7                                 // 00000000A834: 0ABE0F5F
	v_mul_f32_e32 v92, v92, v140                               // 00000000A838: 0AB9195C
	v_mul_f32_e32 v93, v93, v141                               // 00000000A83C: 0ABB1B5D
	v_mul_f32_e32 v94, v94, v142                               // 00000000A840: 0ABD1D5E
	v_mul_f32_e32 v95, v95, v143                               // 00000000A844: 0ABF1F5F
	v_mul_f32_e64 v4, -v96, s6                                 // 00000000A848: D1050004 20000D60
	v_mul_f32_e64 v5, -v97, s6                                 // 00000000A850: D1050005 20000D61
	v_mul_f32_e64 v6, -v98, s6                                 // 00000000A858: D1050006 20000D62
	v_mul_f32_e64 v7, -v99, s6                                 // 00000000A860: D1050007 20000D63
	v_exp_f32_e32 v4, v4                                       // 00000000A868: 7E084104
	v_exp_f32_e32 v5, v5                                       // 00000000A86C: 7E0A4105
	v_exp_f32_e32 v6, v6                                       // 00000000A870: 7E0C4106
	v_exp_f32_e32 v7, v7                                       // 00000000A874: 7E0E4107
	v_add_f32_e64 v4, v4, 1.0                                  // 00000000A878: D1010004 0001E504
	v_add_f32_e64 v5, v5, 1.0                                  // 00000000A880: D1010005 0001E505
	v_add_f32_e64 v6, v6, 1.0                                  // 00000000A888: D1010006 0001E506
	v_add_f32_e64 v7, v7, 1.0                                  // 00000000A890: D1010007 0001E507
	v_rcp_f32_e32 v4, v4                                       // 00000000A898: 7E084504
	v_rcp_f32_e32 v5, v5                                       // 00000000A89C: 7E0A4505
	v_rcp_f32_e32 v6, v6                                       // 00000000A8A0: 7E0C4506
	v_rcp_f32_e32 v7, v7                                       // 00000000A8A4: 7E0E4507
	v_mul_f32_e32 v96, v96, v4                                 // 00000000A8A8: 0AC00960
	v_mul_f32_e32 v97, v97, v5                                 // 00000000A8AC: 0AC20B61
	v_mul_f32_e32 v98, v98, v6                                 // 00000000A8B0: 0AC40D62
	v_mul_f32_e32 v99, v99, v7                                 // 00000000A8B4: 0AC60F63
	v_mul_f32_e32 v96, v96, v144                               // 00000000A8B8: 0AC12160
	v_mul_f32_e32 v97, v97, v145                               // 00000000A8BC: 0AC32361
	v_mul_f32_e32 v98, v98, v146                               // 00000000A8C0: 0AC52562
	v_mul_f32_e32 v99, v99, v147                               // 00000000A8C4: 0AC72763

000000000000a8c8 <label_1FB5>:
	v_cmp_u_f32_e64 s[46:47], v52, v52                         // 00000000A8C8: D048002E 00026934
	v_add3_u32 v16, v52, v19, 1                                // 00000000A8D0: D1FF0010 02062734
	v_cndmask_b32_e64 v4, v16, v18, s[46:47]                   // 00000000A8D8: D1000004 00BA2510
	v_cmp_u_f32_e64 s[46:47], v53, v53                         // 00000000A8E0: D048002E 00026B35
	v_add3_u32 v16, v53, v19, 1                                // 00000000A8E8: D1FF0010 02062735
	v_cndmask_b32_e64 v5, v16, v18, s[46:47]                   // 00000000A8F0: D1000005 00BA2510
	v_perm_b32 v52, v5, v4, s52                                // 00000000A8F8: D1ED0034 00D20905
	v_cmp_u_f32_e64 s[46:47], v54, v54                         // 00000000A900: D048002E 00026D36
	v_add3_u32 v16, v54, v19, 1                                // 00000000A908: D1FF0010 02062736
	v_cndmask_b32_e64 v4, v16, v18, s[46:47]                   // 00000000A910: D1000004 00BA2510
	v_cmp_u_f32_e64 s[46:47], v55, v55                         // 00000000A918: D048002E 00026F37
	v_add3_u32 v16, v55, v19, 1                                // 00000000A920: D1FF0010 02062737
	v_cndmask_b32_e64 v5, v16, v18, s[46:47]                   // 00000000A928: D1000005 00BA2510
	v_perm_b32 v53, v5, v4, s52                                // 00000000A930: D1ED0035 00D20905
	v_cmp_u_f32_e64 s[46:47], v56, v56                         // 00000000A938: D048002E 00027138
	v_add3_u32 v16, v56, v19, 1                                // 00000000A940: D1FF0010 02062738
	v_cndmask_b32_e64 v4, v16, v18, s[46:47]                   // 00000000A948: D1000004 00BA2510
	v_cmp_u_f32_e64 s[46:47], v57, v57                         // 00000000A950: D048002E 00027339
	v_add3_u32 v16, v57, v19, 1                                // 00000000A958: D1FF0010 02062739
	v_cndmask_b32_e64 v5, v16, v18, s[46:47]                   // 00000000A960: D1000005 00BA2510
	v_perm_b32 v54, v5, v4, s52                                // 00000000A968: D1ED0036 00D20905
	v_cmp_u_f32_e64 s[46:47], v58, v58                         // 00000000A970: D048002E 0002753A
	v_add3_u32 v16, v58, v19, 1                                // 00000000A978: D1FF0010 0206273A
	v_cndmask_b32_e64 v4, v16, v18, s[46:47]                   // 00000000A980: D1000004 00BA2510
	v_cmp_u_f32_e64 s[46:47], v59, v59                         // 00000000A988: D048002E 0002773B
	v_add3_u32 v16, v59, v19, 1                                // 00000000A990: D1FF0010 0206273B
	v_cndmask_b32_e64 v5, v16, v18, s[46:47]                   // 00000000A998: D1000005 00BA2510
	v_perm_b32 v55, v5, v4, s52                                // 00000000A9A0: D1ED0037 00D20905
	v_cmp_u_f32_e64 s[46:47], v60, v60                         // 00000000A9A8: D048002E 0002793C
	v_add3_u32 v16, v60, v19, 1                                // 00000000A9B0: D1FF0010 0206273C
	v_cndmask_b32_e64 v4, v16, v18, s[46:47]                   // 00000000A9B8: D1000004 00BA2510
	v_cmp_u_f32_e64 s[46:47], v61, v61                         // 00000000A9C0: D048002E 00027B3D
	v_add3_u32 v16, v61, v19, 1                                // 00000000A9C8: D1FF0010 0206273D
	v_cndmask_b32_e64 v5, v16, v18, s[46:47]                   // 00000000A9D0: D1000005 00BA2510
	v_perm_b32 v56, v5, v4, s52                                // 00000000A9D8: D1ED0038 00D20905
	v_cmp_u_f32_e64 s[46:47], v62, v62                         // 00000000A9E0: D048002E 00027D3E
	v_add3_u32 v16, v62, v19, 1                                // 00000000A9E8: D1FF0010 0206273E
	v_cndmask_b32_e64 v4, v16, v18, s[46:47]                   // 00000000A9F0: D1000004 00BA2510
	v_cmp_u_f32_e64 s[46:47], v63, v63                         // 00000000A9F8: D048002E 00027F3F
	v_add3_u32 v16, v63, v19, 1                                // 00000000AA00: D1FF0010 0206273F
	v_cndmask_b32_e64 v5, v16, v18, s[46:47]                   // 00000000AA08: D1000005 00BA2510
	v_perm_b32 v57, v5, v4, s52                                // 00000000AA10: D1ED0039 00D20905
	v_cmp_u_f32_e64 s[46:47], v64, v64                         // 00000000AA18: D048002E 00028140
	v_add3_u32 v16, v64, v19, 1                                // 00000000AA20: D1FF0010 02062740
	v_cndmask_b32_e64 v4, v16, v18, s[46:47]                   // 00000000AA28: D1000004 00BA2510
	v_cmp_u_f32_e64 s[46:47], v65, v65                         // 00000000AA30: D048002E 00028341
	v_add3_u32 v16, v65, v19, 1                                // 00000000AA38: D1FF0010 02062741
	v_cndmask_b32_e64 v5, v16, v18, s[46:47]                   // 00000000AA40: D1000005 00BA2510
	v_perm_b32 v58, v5, v4, s52                                // 00000000AA48: D1ED003A 00D20905
	v_cmp_u_f32_e64 s[46:47], v66, v66                         // 00000000AA50: D048002E 00028542
	v_add3_u32 v16, v66, v19, 1                                // 00000000AA58: D1FF0010 02062742
	v_cndmask_b32_e64 v4, v16, v18, s[46:47]                   // 00000000AA60: D1000004 00BA2510
	v_cmp_u_f32_e64 s[46:47], v67, v67                         // 00000000AA68: D048002E 00028743
	v_add3_u32 v16, v67, v19, 1                                // 00000000AA70: D1FF0010 02062743
	v_cndmask_b32_e64 v5, v16, v18, s[46:47]                   // 00000000AA78: D1000005 00BA2510
	v_perm_b32 v59, v5, v4, s52                                // 00000000AA80: D1ED003B 00D20905
	v_cmp_u_f32_e64 s[46:47], v68, v68                         // 00000000AA88: D048002E 00028944
	v_add3_u32 v16, v68, v19, 1                                // 00000000AA90: D1FF0010 02062744
	v_cndmask_b32_e64 v4, v16, v18, s[46:47]                   // 00000000AA98: D1000004 00BA2510
	v_cmp_u_f32_e64 s[46:47], v69, v69                         // 00000000AAA0: D048002E 00028B45
	v_add3_u32 v16, v69, v19, 1                                // 00000000AAA8: D1FF0010 02062745
	v_cndmask_b32_e64 v5, v16, v18, s[46:47]                   // 00000000AAB0: D1000005 00BA2510
	v_perm_b32 v60, v5, v4, s52                                // 00000000AAB8: D1ED003C 00D20905
	v_cmp_u_f32_e64 s[46:47], v70, v70                         // 00000000AAC0: D048002E 00028D46
	v_add3_u32 v16, v70, v19, 1                                // 00000000AAC8: D1FF0010 02062746
	v_cndmask_b32_e64 v4, v16, v18, s[46:47]                   // 00000000AAD0: D1000004 00BA2510
	v_cmp_u_f32_e64 s[46:47], v71, v71                         // 00000000AAD8: D048002E 00028F47
	v_add3_u32 v16, v71, v19, 1                                // 00000000AAE0: D1FF0010 02062747
	v_cndmask_b32_e64 v5, v16, v18, s[46:47]                   // 00000000AAE8: D1000005 00BA2510
	v_perm_b32 v61, v5, v4, s52                                // 00000000AAF0: D1ED003D 00D20905
	v_cmp_u_f32_e64 s[46:47], v72, v72                         // 00000000AAF8: D048002E 00029148
	v_add3_u32 v16, v72, v19, 1                                // 00000000AB00: D1FF0010 02062748
	v_cndmask_b32_e64 v4, v16, v18, s[46:47]                   // 00000000AB08: D1000004 00BA2510
	v_cmp_u_f32_e64 s[46:47], v73, v73                         // 00000000AB10: D048002E 00029349
	v_add3_u32 v16, v73, v19, 1                                // 00000000AB18: D1FF0010 02062749
	v_cndmask_b32_e64 v5, v16, v18, s[46:47]                   // 00000000AB20: D1000005 00BA2510
	v_perm_b32 v62, v5, v4, s52                                // 00000000AB28: D1ED003E 00D20905
	v_cmp_u_f32_e64 s[46:47], v74, v74                         // 00000000AB30: D048002E 0002954A
	v_add3_u32 v16, v74, v19, 1                                // 00000000AB38: D1FF0010 0206274A
	v_cndmask_b32_e64 v4, v16, v18, s[46:47]                   // 00000000AB40: D1000004 00BA2510
	v_cmp_u_f32_e64 s[46:47], v75, v75                         // 00000000AB48: D048002E 0002974B
	v_add3_u32 v16, v75, v19, 1                                // 00000000AB50: D1FF0010 0206274B
	v_cndmask_b32_e64 v5, v16, v18, s[46:47]                   // 00000000AB58: D1000005 00BA2510
	v_perm_b32 v63, v5, v4, s52                                // 00000000AB60: D1ED003F 00D20905
	v_cmp_u_f32_e64 s[46:47], v76, v76                         // 00000000AB68: D048002E 0002994C
	v_add3_u32 v16, v76, v19, 1                                // 00000000AB70: D1FF0010 0206274C
	v_cndmask_b32_e64 v4, v16, v18, s[46:47]                   // 00000000AB78: D1000004 00BA2510
	v_cmp_u_f32_e64 s[46:47], v77, v77                         // 00000000AB80: D048002E 00029B4D
	v_add3_u32 v16, v77, v19, 1                                // 00000000AB88: D1FF0010 0206274D
	v_cndmask_b32_e64 v5, v16, v18, s[46:47]                   // 00000000AB90: D1000005 00BA2510
	v_perm_b32 v64, v5, v4, s52                                // 00000000AB98: D1ED0040 00D20905
	v_cmp_u_f32_e64 s[46:47], v78, v78                         // 00000000ABA0: D048002E 00029D4E
	v_add3_u32 v16, v78, v19, 1                                // 00000000ABA8: D1FF0010 0206274E
	v_cndmask_b32_e64 v4, v16, v18, s[46:47]                   // 00000000ABB0: D1000004 00BA2510
	v_cmp_u_f32_e64 s[46:47], v79, v79                         // 00000000ABB8: D048002E 00029F4F
	v_add3_u32 v16, v79, v19, 1                                // 00000000ABC0: D1FF0010 0206274F
	v_cndmask_b32_e64 v5, v16, v18, s[46:47]                   // 00000000ABC8: D1000005 00BA2510
	v_perm_b32 v65, v5, v4, s52                                // 00000000ABD0: D1ED0041 00D20905
	v_cmp_u_f32_e64 s[46:47], v80, v80                         // 00000000ABD8: D048002E 0002A150
	v_add3_u32 v16, v80, v19, 1                                // 00000000ABE0: D1FF0010 02062750
	v_cndmask_b32_e64 v4, v16, v18, s[46:47]                   // 00000000ABE8: D1000004 00BA2510
	v_cmp_u_f32_e64 s[46:47], v81, v81                         // 00000000ABF0: D048002E 0002A351
	v_add3_u32 v16, v81, v19, 1                                // 00000000ABF8: D1FF0010 02062751
	v_cndmask_b32_e64 v5, v16, v18, s[46:47]                   // 00000000AC00: D1000005 00BA2510
	v_perm_b32 v66, v5, v4, s52                                // 00000000AC08: D1ED0042 00D20905
	v_cmp_u_f32_e64 s[46:47], v82, v82                         // 00000000AC10: D048002E 0002A552
	v_add3_u32 v16, v82, v19, 1                                // 00000000AC18: D1FF0010 02062752
	v_cndmask_b32_e64 v4, v16, v18, s[46:47]                   // 00000000AC20: D1000004 00BA2510
	v_cmp_u_f32_e64 s[46:47], v83, v83                         // 00000000AC28: D048002E 0002A753
	v_add3_u32 v16, v83, v19, 1                                // 00000000AC30: D1FF0010 02062753
	v_cndmask_b32_e64 v5, v16, v18, s[46:47]                   // 00000000AC38: D1000005 00BA2510
	v_perm_b32 v67, v5, v4, s52                                // 00000000AC40: D1ED0043 00D20905
	v_cmp_u_f32_e64 s[46:47], v84, v84                         // 00000000AC48: D048002E 0002A954
	v_add3_u32 v16, v84, v19, 1                                // 00000000AC50: D1FF0010 02062754
	v_cndmask_b32_e64 v4, v16, v18, s[46:47]                   // 00000000AC58: D1000004 00BA2510
	v_cmp_u_f32_e64 s[46:47], v85, v85                         // 00000000AC60: D048002E 0002AB55
	v_add3_u32 v16, v85, v19, 1                                // 00000000AC68: D1FF0010 02062755
	v_cndmask_b32_e64 v5, v16, v18, s[46:47]                   // 00000000AC70: D1000005 00BA2510
	v_perm_b32 v68, v5, v4, s52                                // 00000000AC78: D1ED0044 00D20905
	v_cmp_u_f32_e64 s[46:47], v86, v86                         // 00000000AC80: D048002E 0002AD56
	v_add3_u32 v16, v86, v19, 1                                // 00000000AC88: D1FF0010 02062756
	v_cndmask_b32_e64 v4, v16, v18, s[46:47]                   // 00000000AC90: D1000004 00BA2510
	v_cmp_u_f32_e64 s[46:47], v87, v87                         // 00000000AC98: D048002E 0002AF57
	v_add3_u32 v16, v87, v19, 1                                // 00000000ACA0: D1FF0010 02062757
	v_cndmask_b32_e64 v5, v16, v18, s[46:47]                   // 00000000ACA8: D1000005 00BA2510
	v_perm_b32 v69, v5, v4, s52                                // 00000000ACB0: D1ED0045 00D20905
	v_cmp_u_f32_e64 s[46:47], v88, v88                         // 00000000ACB8: D048002E 0002B158
	v_add3_u32 v16, v88, v19, 1                                // 00000000ACC0: D1FF0010 02062758
	v_cndmask_b32_e64 v4, v16, v18, s[46:47]                   // 00000000ACC8: D1000004 00BA2510
	v_cmp_u_f32_e64 s[46:47], v89, v89                         // 00000000ACD0: D048002E 0002B359
	v_add3_u32 v16, v89, v19, 1                                // 00000000ACD8: D1FF0010 02062759
	v_cndmask_b32_e64 v5, v16, v18, s[46:47]                   // 00000000ACE0: D1000005 00BA2510
	v_perm_b32 v70, v5, v4, s52                                // 00000000ACE8: D1ED0046 00D20905
	v_cmp_u_f32_e64 s[46:47], v90, v90                         // 00000000ACF0: D048002E 0002B55A
	v_add3_u32 v16, v90, v19, 1                                // 00000000ACF8: D1FF0010 0206275A
	v_cndmask_b32_e64 v4, v16, v18, s[46:47]                   // 00000000AD00: D1000004 00BA2510
	v_cmp_u_f32_e64 s[46:47], v91, v91                         // 00000000AD08: D048002E 0002B75B
	v_add3_u32 v16, v91, v19, 1                                // 00000000AD10: D1FF0010 0206275B
	v_cndmask_b32_e64 v5, v16, v18, s[46:47]                   // 00000000AD18: D1000005 00BA2510
	v_perm_b32 v71, v5, v4, s52                                // 00000000AD20: D1ED0047 00D20905
	v_cmp_u_f32_e64 s[46:47], v92, v92                         // 00000000AD28: D048002E 0002B95C
	v_add3_u32 v16, v92, v19, 1                                // 00000000AD30: D1FF0010 0206275C
	v_cndmask_b32_e64 v4, v16, v18, s[46:47]                   // 00000000AD38: D1000004 00BA2510
	v_cmp_u_f32_e64 s[46:47], v93, v93                         // 00000000AD40: D048002E 0002BB5D
	v_add3_u32 v16, v93, v19, 1                                // 00000000AD48: D1FF0010 0206275D
	v_cndmask_b32_e64 v5, v16, v18, s[46:47]                   // 00000000AD50: D1000005 00BA2510
	v_perm_b32 v72, v5, v4, s52                                // 00000000AD58: D1ED0048 00D20905
	v_cmp_u_f32_e64 s[46:47], v94, v94                         // 00000000AD60: D048002E 0002BD5E
	v_add3_u32 v16, v94, v19, 1                                // 00000000AD68: D1FF0010 0206275E
	v_cndmask_b32_e64 v4, v16, v18, s[46:47]                   // 00000000AD70: D1000004 00BA2510
	v_cmp_u_f32_e64 s[46:47], v95, v95                         // 00000000AD78: D048002E 0002BF5F
	v_add3_u32 v16, v95, v19, 1                                // 00000000AD80: D1FF0010 0206275F
	v_cndmask_b32_e64 v5, v16, v18, s[46:47]                   // 00000000AD88: D1000005 00BA2510
	v_perm_b32 v73, v5, v4, s52                                // 00000000AD90: D1ED0049 00D20905
	v_cmp_u_f32_e64 s[46:47], v96, v96                         // 00000000AD98: D048002E 0002C160
	v_add3_u32 v16, v96, v19, 1                                // 00000000ADA0: D1FF0010 02062760
	v_cndmask_b32_e64 v4, v16, v18, s[46:47]                   // 00000000ADA8: D1000004 00BA2510
	v_cmp_u_f32_e64 s[46:47], v97, v97                         // 00000000ADB0: D048002E 0002C361
	v_add3_u32 v16, v97, v19, 1                                // 00000000ADB8: D1FF0010 02062761
	v_cndmask_b32_e64 v5, v16, v18, s[46:47]                   // 00000000ADC0: D1000005 00BA2510
	v_perm_b32 v74, v5, v4, s52                                // 00000000ADC8: D1ED004A 00D20905
	v_cmp_u_f32_e64 s[46:47], v98, v98                         // 00000000ADD0: D048002E 0002C562
	v_add3_u32 v16, v98, v19, 1                                // 00000000ADD8: D1FF0010 02062762
	v_cndmask_b32_e64 v4, v16, v18, s[46:47]                   // 00000000ADE0: D1000004 00BA2510
	v_cmp_u_f32_e64 s[46:47], v99, v99                         // 00000000ADE8: D048002E 0002C763
	v_add3_u32 v16, v99, v19, 1                                // 00000000ADF0: D1FF0010 02062763
	v_cndmask_b32_e64 v5, v16, v18, s[46:47]                   // 00000000ADF8: D1000005 00BA2510
	v_perm_b32 v75, v5, v4, s52                                // 00000000AE00: D1ED004B 00D20905
	ds_write_b64 v20, v[52:53]                                 // 00000000AE08: D89A0000 00003414
	ds_write_b64 v20, v[54:55] offset:8704                     // 00000000AE10: D89A2200 00003614
	ds_write_b64 v20, v[56:57] offset:17408                    // 00000000AE18: D89A4400 00003814
	ds_write_b64 v20, v[58:59] offset:2176                     // 00000000AE20: D89A0880 00003A14
	ds_write_b64 v20, v[60:61] offset:10880                    // 00000000AE28: D89A2A80 00003C14
	ds_write_b64 v20, v[62:63] offset:19584                    // 00000000AE30: D89A4C80 00003E14
	ds_write_b64 v20, v[64:65] offset:4352                     // 00000000AE38: D89A1100 00004014
	ds_write_b64 v20, v[66:67] offset:13056                    // 00000000AE40: D89A3300 00004214
	ds_write_b64 v20, v[68:69] offset:21760                    // 00000000AE48: D89A5500 00004414
	ds_write_b64 v20, v[70:71] offset:6528                     // 00000000AE50: D89A1980 00004614
	ds_write_b64 v20, v[72:73] offset:15232                    // 00000000AE58: D89A3B80 00004814
	ds_write_b64 v20, v[74:75] offset:23936                    // 00000000AE60: D89A5D80 00004A14
	v_lshrrev_b32_e32 v4, 5, v0                                // 00000000AE68: 20080085
	v_xor_b32_e32 v5, 1, v4                                    // 00000000AE6C: 2A0A0881
	s_mul_i32 s60, s65, 2                                      // 00000000AE70: 923C8241
	s_cmp_eq_u32 s88, 0                                        // 00000000AE74: BF068058
	s_cselect_b32 s61, 1, 4                                    // 00000000AE78: 853D8481
	s_mul_i32 s60, s61, s60                                    // 00000000AE7C: 923C3C3D
	v_readlane_b32 s82, v3, 0                                  // 00000000AE80: D2890052 00010103
	s_lshr_b32 s61, s82, 24                                    // 00000000AE88: 8F3D9852
	s_and_b32 s82, s82, 0xffffff                               // 00000000AE8C: 8652FF52 00FFFFFF
	s_mul_i32 s82, s82, s71                                    // 00000000AE94: 92524752
	s_mul_i32 s61, s60, s61                                    // 00000000AE98: 923D3D3C
	s_add_u32 s82, s82, s61                                    // 00000000AE9C: 80523D52
	v_mul_lo_u32 v6, v5, s82                                   // 00000000AEA0: D2850006 0000A505
	v_readlane_b32 s82, v3, 1                                  // 00000000AEA8: D2890052 00010303
	s_lshr_b32 s61, s82, 24                                    // 00000000AEB0: 8F3D9852
	s_and_b32 s82, s82, 0xffffff                               // 00000000AEB4: 8652FF52 00FFFFFF
	s_mul_i32 s82, s82, s71                                    // 00000000AEBC: 92524752
	s_mul_i32 s61, s60, s61                                    // 00000000AEC0: 923D3D3C
	s_add_u32 s82, s82, s61                                    // 00000000AEC4: 80523D52
	v_mul_lo_u32 v7, v4, s82                                   // 00000000AEC8: D2850007 0000A504
	v_add_u32_e32 v42, v6, v7                                  // 00000000AED0: 68540F06
	v_readlane_b32 s82, v3, 2                                  // 00000000AED4: D2890052 00010503
	s_lshr_b32 s61, s82, 24                                    // 00000000AEDC: 8F3D9852
	s_and_b32 s82, s82, 0xffffff                               // 00000000AEE0: 8652FF52 00FFFFFF
	s_mul_i32 s82, s82, s71                                    // 00000000AEE8: 92524752
	s_mul_i32 s61, s60, s61                                    // 00000000AEEC: 923D3D3C
	s_add_u32 s82, s82, s61                                    // 00000000AEF0: 80523D52
	v_mul_lo_u32 v6, v5, s82                                   // 00000000AEF4: D2850006 0000A505
	v_readlane_b32 s82, v3, 3                                  // 00000000AEFC: D2890052 00010703
	s_lshr_b32 s61, s82, 24                                    // 00000000AF04: 8F3D9852
	s_and_b32 s82, s82, 0xffffff                               // 00000000AF08: 8652FF52 00FFFFFF
	s_mul_i32 s82, s82, s71                                    // 00000000AF10: 92524752
	s_mul_i32 s61, s60, s61                                    // 00000000AF14: 923D3D3C
	s_add_u32 s82, s82, s61                                    // 00000000AF18: 80523D52
	v_mul_lo_u32 v7, v4, s82                                   // 00000000AF1C: D2850007 0000A504
	v_add_u32_e32 v43, v6, v7                                  // 00000000AF24: 68560F06
	v_readlane_b32 s82, v3, 4                                  // 00000000AF28: D2890052 00010903
	s_lshr_b32 s61, s82, 24                                    // 00000000AF30: 8F3D9852
	s_and_b32 s82, s82, 0xffffff                               // 00000000AF34: 8652FF52 00FFFFFF
	s_mul_i32 s82, s82, s71                                    // 00000000AF3C: 92524752
	s_mul_i32 s61, s60, s61                                    // 00000000AF40: 923D3D3C
	s_add_u32 s82, s82, s61                                    // 00000000AF44: 80523D52
	v_mul_lo_u32 v6, v5, s82                                   // 00000000AF48: D2850006 0000A505
	v_readlane_b32 s82, v3, 5                                  // 00000000AF50: D2890052 00010B03
	s_lshr_b32 s61, s82, 24                                    // 00000000AF58: 8F3D9852
	s_and_b32 s82, s82, 0xffffff                               // 00000000AF5C: 8652FF52 00FFFFFF
	s_mul_i32 s82, s82, s71                                    // 00000000AF64: 92524752
	s_mul_i32 s61, s60, s61                                    // 00000000AF68: 923D3D3C
	s_add_u32 s82, s82, s61                                    // 00000000AF6C: 80523D52
	v_mul_lo_u32 v7, v4, s82                                   // 00000000AF70: D2850007 0000A504
	v_add_u32_e32 v44, v6, v7                                  // 00000000AF78: 68580F06
	v_readlane_b32 s82, v3, 6                                  // 00000000AF7C: D2890052 00010D03
	s_lshr_b32 s61, s82, 24                                    // 00000000AF84: 8F3D9852
	s_and_b32 s82, s82, 0xffffff                               // 00000000AF88: 8652FF52 00FFFFFF
	s_mul_i32 s82, s82, s71                                    // 00000000AF90: 92524752
	s_mul_i32 s61, s60, s61                                    // 00000000AF94: 923D3D3C
	s_add_u32 s82, s82, s61                                    // 00000000AF98: 80523D52
	v_mul_lo_u32 v6, v5, s82                                   // 00000000AF9C: D2850006 0000A505
	v_readlane_b32 s82, v3, 7                                  // 00000000AFA4: D2890052 00010F03
	s_lshr_b32 s61, s82, 24                                    // 00000000AFAC: 8F3D9852
	s_and_b32 s82, s82, 0xffffff                               // 00000000AFB0: 8652FF52 00FFFFFF
	s_mul_i32 s82, s82, s71                                    // 00000000AFB8: 92524752
	s_mul_i32 s61, s60, s61                                    // 00000000AFBC: 923D3D3C
	s_add_u32 s82, s82, s61                                    // 00000000AFC0: 80523D52
	v_mul_lo_u32 v7, v4, s82                                   // 00000000AFC4: D2850007 0000A504
	v_add_u32_e32 v45, v6, v7                                  // 00000000AFCC: 685A0F06
	v_readlane_b32 s82, v3, 8                                  // 00000000AFD0: D2890052 00011103
	s_lshr_b32 s61, s82, 24                                    // 00000000AFD8: 8F3D9852
	s_and_b32 s82, s82, 0xffffff                               // 00000000AFDC: 8652FF52 00FFFFFF
	s_mul_i32 s82, s82, s71                                    // 00000000AFE4: 92524752
	s_mul_i32 s61, s60, s61                                    // 00000000AFE8: 923D3D3C
	s_add_u32 s82, s82, s61                                    // 00000000AFEC: 80523D52
	v_mul_lo_u32 v6, v5, s82                                   // 00000000AFF0: D2850006 0000A505
	v_readlane_b32 s82, v3, 9                                  // 00000000AFF8: D2890052 00011303
	s_lshr_b32 s61, s82, 24                                    // 00000000B000: 8F3D9852
	s_and_b32 s82, s82, 0xffffff                               // 00000000B004: 8652FF52 00FFFFFF
	s_mul_i32 s82, s82, s71                                    // 00000000B00C: 92524752
	s_mul_i32 s61, s60, s61                                    // 00000000B010: 923D3D3C
	s_add_u32 s82, s82, s61                                    // 00000000B014: 80523D52
	v_mul_lo_u32 v7, v4, s82                                   // 00000000B018: D2850007 0000A504
	v_add_u32_e32 v46, v6, v7                                  // 00000000B020: 685C0F06
	v_readlane_b32 s82, v3, 10                                 // 00000000B024: D2890052 00011503
	s_lshr_b32 s61, s82, 24                                    // 00000000B02C: 8F3D9852
	s_and_b32 s82, s82, 0xffffff                               // 00000000B030: 8652FF52 00FFFFFF
	s_mul_i32 s82, s82, s71                                    // 00000000B038: 92524752
	s_mul_i32 s61, s60, s61                                    // 00000000B03C: 923D3D3C
	s_add_u32 s82, s82, s61                                    // 00000000B040: 80523D52
	v_mul_lo_u32 v6, v5, s82                                   // 00000000B044: D2850006 0000A505
	v_readlane_b32 s82, v3, 11                                 // 00000000B04C: D2890052 00011703
	s_lshr_b32 s61, s82, 24                                    // 00000000B054: 8F3D9852
	s_and_b32 s82, s82, 0xffffff                               // 00000000B058: 8652FF52 00FFFFFF
	s_mul_i32 s82, s82, s71                                    // 00000000B060: 92524752
	s_mul_i32 s61, s60, s61                                    // 00000000B064: 923D3D3C
	s_add_u32 s82, s82, s61                                    // 00000000B068: 80523D52
	v_mul_lo_u32 v7, v4, s82                                   // 00000000B06C: D2850007 0000A504
	v_add_u32_e32 v47, v6, v7                                  // 00000000B074: 685E0F06
	v_and_b32_e32 v4, 31, v0                                   // 00000000B078: 2608009F
	v_lshrrev_b32_e32 v4, 1, v4                                // 00000000B07C: 20080881
	s_cmp_eq_u32 s88, 0                                        // 00000000B080: BF068058
	s_cselect_b32 s61, 2, 4                                    // 00000000B084: 853D8482
	v_mul_lo_u32 v4, v4, s61                                   // 00000000B088: D2850004 00007B04
	v_and_b32_e64 v5, v0, 1                                    // 00000000B090: D1130005 00010300
	v_add_u32_e32 v4, v4, v5                                   // 00000000B098: 68080B04
	v_lshlrev_b32_e32 v4, 2, v4                                // 00000000B09C: 24080882
	v_add_u32_e32 v42, v42, v4                                 // 00000000B0A0: 6854092A
	v_add_u32_e32 v43, v43, v4                                 // 00000000B0A4: 6856092B
	v_add_u32_e32 v44, v44, v4                                 // 00000000B0A8: 6858092C
	v_add_u32_e32 v45, v45, v4                                 // 00000000B0AC: 685A092D
	v_add_u32_e32 v46, v46, v4                                 // 00000000B0B0: 685C092E
	v_add_u32_e32 v47, v47, v4                                 // 00000000B0B4: 685E092F
	s_waitcnt lgkmcnt(0)                                       // 00000000B0B8: BF8CC07F
	s_barrier                                                  // 00000000B0BC: BF8A0000
	ds_read_b32 v52, v21                                       // 00000000B0C0: D86C0000 34000015
	ds_read_b32 v53, v21 offset:64                             // 00000000B0C8: D86C0040 35000015
	ds_read_b32 v54, v21 offset:2176                           // 00000000B0D0: D86C0880 36000015
	ds_read_b32 v55, v21 offset:2240                           // 00000000B0D8: D86C08C0 37000015
	ds_read_b32 v56, v21 offset:4352                           // 00000000B0E0: D86C1100 38000015
	ds_read_b32 v57, v21 offset:4416                           // 00000000B0E8: D86C1140 39000015
	ds_read_b32 v58, v21 offset:6528                           // 00000000B0F0: D86C1980 3A000015
	ds_read_b32 v59, v21 offset:6592                           // 00000000B0F8: D86C19C0 3B000015
	ds_read_b32 v60, v21 offset:8704                           // 00000000B100: D86C2200 3C000015
	ds_read_b32 v61, v21 offset:8768                           // 00000000B108: D86C2240 3D000015
	ds_read_b32 v62, v21 offset:10880                          // 00000000B110: D86C2A80 3E000015
	ds_read_b32 v63, v21 offset:10944                          // 00000000B118: D86C2AC0 3F000015
	ds_read_b32 v64, v21 offset:13056                          // 00000000B120: D86C3300 40000015
	ds_read_b32 v65, v21 offset:13120                          // 00000000B128: D86C3340 41000015
	ds_read_b32 v66, v21 offset:15232                          // 00000000B130: D86C3B80 42000015
	ds_read_b32 v67, v21 offset:15296                          // 00000000B138: D86C3BC0 43000015
	ds_read_b32 v68, v21 offset:17408                          // 00000000B140: D86C4400 44000015
	ds_read_b32 v69, v21 offset:17472                          // 00000000B148: D86C4440 45000015
	ds_read_b32 v70, v21 offset:19584                          // 00000000B150: D86C4C80 46000015
	ds_read_b32 v71, v21 offset:19648                          // 00000000B158: D86C4CC0 47000015
	ds_read_b32 v72, v21 offset:21760                          // 00000000B160: D86C5500 48000015
	ds_read_b32 v73, v21 offset:21824                          // 00000000B168: D86C5540 49000015
	ds_read_b32 v74, v21 offset:23936                          // 00000000B170: D86C5D80 4A000015
	ds_read_b32 v75, v21 offset:24000                          // 00000000B178: D86C5DC0 4B000015
	s_waitcnt lgkmcnt(0)                                       // 00000000B180: BF8CC07F
	s_mov_b32 s36, -1                                          // 00000000B184: BEA400C1
	s_mov_b32 s37, -1                                          // 00000000B188: BEA500C1
	v_mov_b32_e32 v7, 0                                        // 00000000B18C: 7E0E0280
	s_or_b32 s9, s9, 0x40000                                   // 00000000B190: 8709FF09 00040000
	s_mov_b64 exec, s[36:37]                                   // 00000000B198: BEFE0124
	v_mov_b32_e32 v6, v42                                      // 00000000B19C: 7E0C032A
	s_mov_b64 s[60:61], 0                                      // 00000000B1A0: BEBC0180
	v_readlane_b32 s82, v3, 0                                  // 00000000B1A4: D2890052 00010103
	s_and_b32 s82, s82, 0xffffff                               // 00000000B1AC: 8652FF52 00FFFFFF
	s_cmp_lt_u32 s82, s66                                      // 00000000B1B4: BF0A4252
	s_cselect_b32 s20, s36, s60                                // 00000000B1B8: 85143C24
	v_readlane_b32 s82, v3, 1                                  // 00000000B1BC: D2890052 00010303
	s_and_b32 s82, s82, 0xffffff                               // 00000000B1C4: 8652FF52 00FFFFFF
	s_cmp_lt_u32 s82, s66                                      // 00000000B1CC: BF0A4252
	s_cselect_b32 s21, s36, s60                                // 00000000B1D0: 85153C24
	s_mov_b64 exec, s[20:21]                                   // 00000000B1D4: BEFE0114
	buffer_store_dword v52, v6, s[8:11], 0 offen               // 00000000B1D8: E0701000 80023406
	buffer_store_dword v54, v6, s[8:11], 0 offen offset:128    // 00000000B1E0: E0701080 80023606
	buffer_store_dword v56, v6, s[8:11], 0 offen offset:256    // 00000000B1E8: E0701100 80023806
	buffer_store_dword v58, v6, s[8:11], 0 offen offset:384    // 00000000B1F0: E0701180 80023A06
	s_mov_b64 exec, s[36:37]                                   // 00000000B1F8: BEFE0124
	v_mov_b32_e32 v6, v43                                      // 00000000B1FC: 7E0C032B
	s_mov_b64 s[60:61], 0                                      // 00000000B200: BEBC0180
	v_readlane_b32 s82, v3, 2                                  // 00000000B204: D2890052 00010503
	s_and_b32 s82, s82, 0xffffff                               // 00000000B20C: 8652FF52 00FFFFFF
	s_cmp_lt_u32 s82, s66                                      // 00000000B214: BF0A4252
	s_cselect_b32 s20, s36, s60                                // 00000000B218: 85143C24
	v_readlane_b32 s82, v3, 3                                  // 00000000B21C: D2890052 00010703
	s_and_b32 s82, s82, 0xffffff                               // 00000000B224: 8652FF52 00FFFFFF
	s_cmp_lt_u32 s82, s66                                      // 00000000B22C: BF0A4252
	s_cselect_b32 s21, s36, s60                                // 00000000B230: 85153C24
	s_mov_b64 exec, s[20:21]                                   // 00000000B234: BEFE0114
	buffer_store_dword v53, v6, s[8:11], 0 offen               // 00000000B238: E0701000 80023506
	buffer_store_dword v55, v6, s[8:11], 0 offen offset:128    // 00000000B240: E0701080 80023706
	buffer_store_dword v57, v6, s[8:11], 0 offen offset:256    // 00000000B248: E0701100 80023906
	buffer_store_dword v59, v6, s[8:11], 0 offen offset:384    // 00000000B250: E0701180 80023B06
	s_mov_b64 exec, s[36:37]                                   // 00000000B258: BEFE0124
	v_mov_b32_e32 v6, v44                                      // 00000000B25C: 7E0C032C
	s_mov_b64 s[60:61], 0                                      // 00000000B260: BEBC0180
	v_readlane_b32 s82, v3, 4                                  // 00000000B264: D2890052 00010903
	s_and_b32 s82, s82, 0xffffff                               // 00000000B26C: 8652FF52 00FFFFFF
	s_cmp_lt_u32 s82, s66                                      // 00000000B274: BF0A4252
	s_cselect_b32 s20, s36, s60                                // 00000000B278: 85143C24
	v_readlane_b32 s82, v3, 5                                  // 00000000B27C: D2890052 00010B03
	s_and_b32 s82, s82, 0xffffff                               // 00000000B284: 8652FF52 00FFFFFF
	s_cmp_lt_u32 s82, s66                                      // 00000000B28C: BF0A4252
	s_cselect_b32 s21, s36, s60                                // 00000000B290: 85153C24
	s_mov_b64 exec, s[20:21]                                   // 00000000B294: BEFE0114
	buffer_store_dword v60, v6, s[8:11], 0 offen               // 00000000B298: E0701000 80023C06
	buffer_store_dword v62, v6, s[8:11], 0 offen offset:128    // 00000000B2A0: E0701080 80023E06
	buffer_store_dword v64, v6, s[8:11], 0 offen offset:256    // 00000000B2A8: E0701100 80024006
	buffer_store_dword v66, v6, s[8:11], 0 offen offset:384    // 00000000B2B0: E0701180 80024206
	s_mov_b64 exec, s[36:37]                                   // 00000000B2B8: BEFE0124
	v_mov_b32_e32 v6, v45                                      // 00000000B2BC: 7E0C032D
	s_mov_b64 s[60:61], 0                                      // 00000000B2C0: BEBC0180
	v_readlane_b32 s82, v3, 6                                  // 00000000B2C4: D2890052 00010D03
	s_and_b32 s82, s82, 0xffffff                               // 00000000B2CC: 8652FF52 00FFFFFF
	s_cmp_lt_u32 s82, s66                                      // 00000000B2D4: BF0A4252
	s_cselect_b32 s20, s36, s60                                // 00000000B2D8: 85143C24
	v_readlane_b32 s82, v3, 7                                  // 00000000B2DC: D2890052 00010F03
	s_and_b32 s82, s82, 0xffffff                               // 00000000B2E4: 8652FF52 00FFFFFF
	s_cmp_lt_u32 s82, s66                                      // 00000000B2EC: BF0A4252
	s_cselect_b32 s21, s36, s60                                // 00000000B2F0: 85153C24
	s_mov_b64 exec, s[20:21]                                   // 00000000B2F4: BEFE0114
	buffer_store_dword v61, v6, s[8:11], 0 offen               // 00000000B2F8: E0701000 80023D06
	buffer_store_dword v63, v6, s[8:11], 0 offen offset:128    // 00000000B300: E0701080 80023F06
	buffer_store_dword v65, v6, s[8:11], 0 offen offset:256    // 00000000B308: E0701100 80024106
	buffer_store_dword v67, v6, s[8:11], 0 offen offset:384    // 00000000B310: E0701180 80024306
	s_mov_b64 exec, s[36:37]                                   // 00000000B318: BEFE0124
	v_mov_b32_e32 v6, v46                                      // 00000000B31C: 7E0C032E
	s_mov_b64 s[60:61], 0                                      // 00000000B320: BEBC0180
	v_readlane_b32 s82, v3, 8                                  // 00000000B324: D2890052 00011103
	s_and_b32 s82, s82, 0xffffff                               // 00000000B32C: 8652FF52 00FFFFFF
	s_cmp_lt_u32 s82, s66                                      // 00000000B334: BF0A4252
	s_cselect_b32 s20, s36, s60                                // 00000000B338: 85143C24
	v_readlane_b32 s82, v3, 9                                  // 00000000B33C: D2890052 00011303
	s_and_b32 s82, s82, 0xffffff                               // 00000000B344: 8652FF52 00FFFFFF
	s_cmp_lt_u32 s82, s66                                      // 00000000B34C: BF0A4252
	s_cselect_b32 s21, s36, s60                                // 00000000B350: 85153C24
	s_mov_b64 exec, s[20:21]                                   // 00000000B354: BEFE0114
	buffer_store_dword v68, v6, s[8:11], 0 offen               // 00000000B358: E0701000 80024406
	buffer_store_dword v70, v6, s[8:11], 0 offen offset:128    // 00000000B360: E0701080 80024606
	buffer_store_dword v72, v6, s[8:11], 0 offen offset:256    // 00000000B368: E0701100 80024806
	buffer_store_dword v74, v6, s[8:11], 0 offen offset:384    // 00000000B370: E0701180 80024A06
	s_mov_b64 exec, s[36:37]                                   // 00000000B378: BEFE0124
	v_mov_b32_e32 v6, v47                                      // 00000000B37C: 7E0C032F
	s_mov_b64 s[60:61], 0                                      // 00000000B380: BEBC0180
	v_readlane_b32 s82, v3, 10                                 // 00000000B384: D2890052 00011503
	s_and_b32 s82, s82, 0xffffff                               // 00000000B38C: 8652FF52 00FFFFFF
	s_cmp_lt_u32 s82, s66                                      // 00000000B394: BF0A4252
	s_cselect_b32 s20, s36, s60                                // 00000000B398: 85143C24
	v_readlane_b32 s82, v3, 11                                 // 00000000B39C: D2890052 00011703
	s_and_b32 s82, s82, 0xffffff                               // 00000000B3A4: 8652FF52 00FFFFFF
	s_cmp_lt_u32 s82, s66                                      // 00000000B3AC: BF0A4252
	s_cselect_b32 s21, s36, s60                                // 00000000B3B0: 85153C24
	s_mov_b64 exec, s[20:21]                                   // 00000000B3B4: BEFE0114
	buffer_store_dword v69, v6, s[8:11], 0 offen               // 00000000B3B8: E0701000 80024506
	buffer_store_dword v71, v6, s[8:11], 0 offen offset:128    // 00000000B3C0: E0701080 80024706
	buffer_store_dword v73, v6, s[8:11], 0 offen offset:256    // 00000000B3C8: E0701100 80024906
	buffer_store_dword v75, v6, s[8:11], 0 offen offset:384    // 00000000B3D0: E0701180 80024B06
	s_mov_b64 exec, s[36:37]                                   // 00000000B3D8: BEFE0124
	s_branch label_2689                                        // 00000000B3DC: BF82040E

000000000000b3e0 <label_227B>:
	ds_write_b64 v20, v[52:53]                                 // 00000000B3E0: D89A0000 00003414
	ds_write_b64 v20, v[56:57] offset:8704                     // 00000000B3E8: D89A2200 00003814
	ds_write_b64 v20, v[60:61] offset:17408                    // 00000000B3F0: D89A4400 00003C14
	ds_write_b64 v20, v[64:65] offset:2176                     // 00000000B3F8: D89A0880 00004014
	ds_write_b64 v20, v[68:69] offset:10880                    // 00000000B400: D89A2A80 00004414
	ds_write_b64 v20, v[72:73] offset:19584                    // 00000000B408: D89A4C80 00004814
	ds_write_b64 v20, v[76:77] offset:4352                     // 00000000B410: D89A1100 00004C14
	ds_write_b64 v20, v[80:81] offset:13056                    // 00000000B418: D89A3300 00005014
	ds_write_b64 v20, v[84:85] offset:21760                    // 00000000B420: D89A5500 00005414
	ds_write_b64 v20, v[88:89] offset:6528                     // 00000000B428: D89A1980 00005814
	ds_write_b64 v20, v[92:93] offset:15232                    // 00000000B430: D89A3B80 00005C14
	ds_write_b64 v20, v[96:97] offset:23936                    // 00000000B438: D89A5D80 00006014
	v_lshrrev_b32_e32 v4, 5, v0                                // 00000000B440: 20080085
	v_xor_b32_e32 v5, 1, v4                                    // 00000000B444: 2A0A0881
	s_mul_i32 s60, s65, 2                                      // 00000000B448: 923C8241
	s_cmp_eq_u32 s88, 0                                        // 00000000B44C: BF068058
	s_cselect_b32 s61, 1, 4                                    // 00000000B450: 853D8481
	s_mul_i32 s60, s61, s60                                    // 00000000B454: 923C3C3D
	v_readlane_b32 s82, v3, 0                                  // 00000000B458: D2890052 00010103
	s_lshr_b32 s61, s82, 24                                    // 00000000B460: 8F3D9852
	s_and_b32 s82, s82, 0xffffff                               // 00000000B464: 8652FF52 00FFFFFF
	s_mul_i32 s82, s82, s71                                    // 00000000B46C: 92524752
	s_mul_i32 s61, s60, s61                                    // 00000000B470: 923D3D3C
	s_add_u32 s82, s82, s61                                    // 00000000B474: 80523D52
	v_mul_lo_u32 v6, v5, s82                                   // 00000000B478: D2850006 0000A505
	v_readlane_b32 s82, v3, 1                                  // 00000000B480: D2890052 00010303
	s_lshr_b32 s61, s82, 24                                    // 00000000B488: 8F3D9852
	s_and_b32 s82, s82, 0xffffff                               // 00000000B48C: 8652FF52 00FFFFFF
	s_mul_i32 s82, s82, s71                                    // 00000000B494: 92524752
	s_mul_i32 s61, s60, s61                                    // 00000000B498: 923D3D3C
	s_add_u32 s82, s82, s61                                    // 00000000B49C: 80523D52
	v_mul_lo_u32 v7, v4, s82                                   // 00000000B4A0: D2850007 0000A504
	v_add_u32_e32 v42, v6, v7                                  // 00000000B4A8: 68540F06
	v_readlane_b32 s82, v3, 2                                  // 00000000B4AC: D2890052 00010503
	s_lshr_b32 s61, s82, 24                                    // 00000000B4B4: 8F3D9852
	s_and_b32 s82, s82, 0xffffff                               // 00000000B4B8: 8652FF52 00FFFFFF
	s_mul_i32 s82, s82, s71                                    // 00000000B4C0: 92524752
	s_mul_i32 s61, s60, s61                                    // 00000000B4C4: 923D3D3C
	s_add_u32 s82, s82, s61                                    // 00000000B4C8: 80523D52
	v_mul_lo_u32 v6, v5, s82                                   // 00000000B4CC: D2850006 0000A505
	v_readlane_b32 s82, v3, 3                                  // 00000000B4D4: D2890052 00010703
	s_lshr_b32 s61, s82, 24                                    // 00000000B4DC: 8F3D9852
	s_and_b32 s82, s82, 0xffffff                               // 00000000B4E0: 8652FF52 00FFFFFF
	s_mul_i32 s82, s82, s71                                    // 00000000B4E8: 92524752
	s_mul_i32 s61, s60, s61                                    // 00000000B4EC: 923D3D3C
	s_add_u32 s82, s82, s61                                    // 00000000B4F0: 80523D52
	v_mul_lo_u32 v7, v4, s82                                   // 00000000B4F4: D2850007 0000A504
	v_add_u32_e32 v43, v6, v7                                  // 00000000B4FC: 68560F06
	v_readlane_b32 s82, v3, 4                                  // 00000000B500: D2890052 00010903
	s_lshr_b32 s61, s82, 24                                    // 00000000B508: 8F3D9852
	s_and_b32 s82, s82, 0xffffff                               // 00000000B50C: 8652FF52 00FFFFFF
	s_mul_i32 s82, s82, s71                                    // 00000000B514: 92524752
	s_mul_i32 s61, s60, s61                                    // 00000000B518: 923D3D3C
	s_add_u32 s82, s82, s61                                    // 00000000B51C: 80523D52
	v_mul_lo_u32 v6, v5, s82                                   // 00000000B520: D2850006 0000A505
	v_readlane_b32 s82, v3, 5                                  // 00000000B528: D2890052 00010B03
	s_lshr_b32 s61, s82, 24                                    // 00000000B530: 8F3D9852
	s_and_b32 s82, s82, 0xffffff                               // 00000000B534: 8652FF52 00FFFFFF
	s_mul_i32 s82, s82, s71                                    // 00000000B53C: 92524752
	s_mul_i32 s61, s60, s61                                    // 00000000B540: 923D3D3C
	s_add_u32 s82, s82, s61                                    // 00000000B544: 80523D52
	v_mul_lo_u32 v7, v4, s82                                   // 00000000B548: D2850007 0000A504
	v_add_u32_e32 v44, v6, v7                                  // 00000000B550: 68580F06
	v_readlane_b32 s82, v3, 6                                  // 00000000B554: D2890052 00010D03
	s_lshr_b32 s61, s82, 24                                    // 00000000B55C: 8F3D9852
	s_and_b32 s82, s82, 0xffffff                               // 00000000B560: 8652FF52 00FFFFFF
	s_mul_i32 s82, s82, s71                                    // 00000000B568: 92524752
	s_mul_i32 s61, s60, s61                                    // 00000000B56C: 923D3D3C
	s_add_u32 s82, s82, s61                                    // 00000000B570: 80523D52
	v_mul_lo_u32 v6, v5, s82                                   // 00000000B574: D2850006 0000A505
	v_readlane_b32 s82, v3, 7                                  // 00000000B57C: D2890052 00010F03
	s_lshr_b32 s61, s82, 24                                    // 00000000B584: 8F3D9852
	s_and_b32 s82, s82, 0xffffff                               // 00000000B588: 8652FF52 00FFFFFF
	s_mul_i32 s82, s82, s71                                    // 00000000B590: 92524752
	s_mul_i32 s61, s60, s61                                    // 00000000B594: 923D3D3C
	s_add_u32 s82, s82, s61                                    // 00000000B598: 80523D52
	v_mul_lo_u32 v7, v4, s82                                   // 00000000B59C: D2850007 0000A504
	v_add_u32_e32 v45, v6, v7                                  // 00000000B5A4: 685A0F06
	v_readlane_b32 s82, v3, 8                                  // 00000000B5A8: D2890052 00011103
	s_lshr_b32 s61, s82, 24                                    // 00000000B5B0: 8F3D9852
	s_and_b32 s82, s82, 0xffffff                               // 00000000B5B4: 8652FF52 00FFFFFF
	s_mul_i32 s82, s82, s71                                    // 00000000B5BC: 92524752
	s_mul_i32 s61, s60, s61                                    // 00000000B5C0: 923D3D3C
	s_add_u32 s82, s82, s61                                    // 00000000B5C4: 80523D52
	v_mul_lo_u32 v6, v5, s82                                   // 00000000B5C8: D2850006 0000A505
	v_readlane_b32 s82, v3, 9                                  // 00000000B5D0: D2890052 00011303
	s_lshr_b32 s61, s82, 24                                    // 00000000B5D8: 8F3D9852
	s_and_b32 s82, s82, 0xffffff                               // 00000000B5DC: 8652FF52 00FFFFFF
	s_mul_i32 s82, s82, s71                                    // 00000000B5E4: 92524752
	s_mul_i32 s61, s60, s61                                    // 00000000B5E8: 923D3D3C
	s_add_u32 s82, s82, s61                                    // 00000000B5EC: 80523D52
	v_mul_lo_u32 v7, v4, s82                                   // 00000000B5F0: D2850007 0000A504
	v_add_u32_e32 v46, v6, v7                                  // 00000000B5F8: 685C0F06
	v_readlane_b32 s82, v3, 10                                 // 00000000B5FC: D2890052 00011503
	s_lshr_b32 s61, s82, 24                                    // 00000000B604: 8F3D9852
	s_and_b32 s82, s82, 0xffffff                               // 00000000B608: 8652FF52 00FFFFFF
	s_mul_i32 s82, s82, s71                                    // 00000000B610: 92524752
	s_mul_i32 s61, s60, s61                                    // 00000000B614: 923D3D3C
	s_add_u32 s82, s82, s61                                    // 00000000B618: 80523D52
	v_mul_lo_u32 v6, v5, s82                                   // 00000000B61C: D2850006 0000A505
	v_readlane_b32 s82, v3, 11                                 // 00000000B624: D2890052 00011703
	s_lshr_b32 s61, s82, 24                                    // 00000000B62C: 8F3D9852
	s_and_b32 s82, s82, 0xffffff                               // 00000000B630: 8652FF52 00FFFFFF
	s_mul_i32 s82, s82, s71                                    // 00000000B638: 92524752
	s_mul_i32 s61, s60, s61                                    // 00000000B63C: 923D3D3C
	s_add_u32 s82, s82, s61                                    // 00000000B640: 80523D52
	v_mul_lo_u32 v7, v4, s82                                   // 00000000B644: D2850007 0000A504
	v_add_u32_e32 v47, v6, v7                                  // 00000000B64C: 685E0F06
	v_and_b32_e32 v4, 31, v0                                   // 00000000B650: 2608009F
	v_lshrrev_b32_e32 v4, 1, v4                                // 00000000B654: 20080881
	s_cmp_eq_u32 s88, 0                                        // 00000000B658: BF068058
	s_cselect_b32 s61, 2, 4                                    // 00000000B65C: 853D8482
	v_mul_lo_u32 v4, v4, s61                                   // 00000000B660: D2850004 00007B04
	v_and_b32_e64 v5, v0, 1                                    // 00000000B668: D1130005 00010300
	v_add_u32_e32 v4, v4, v5                                   // 00000000B670: 68080B04
	v_lshlrev_b32_e32 v4, 2, v4                                // 00000000B674: 24080882
	v_add_u32_e32 v42, v42, v4                                 // 00000000B678: 6854092A
	v_add_u32_e32 v43, v43, v4                                 // 00000000B67C: 6856092B
	v_add_u32_e32 v44, v44, v4                                 // 00000000B680: 6858092C
	v_add_u32_e32 v45, v45, v4                                 // 00000000B684: 685A092D
	v_add_u32_e32 v46, v46, v4                                 // 00000000B688: 685C092E
	v_add_u32_e32 v47, v47, v4                                 // 00000000B68C: 685E092F
	s_waitcnt lgkmcnt(0)                                       // 00000000B690: BF8CC07F
	s_barrier                                                  // 00000000B694: BF8A0000
	ds_read_b32 v52, v21                                       // 00000000B698: D86C0000 34000015
	ds_read_b32 v53, v21 offset:64                             // 00000000B6A0: D86C0040 35000015
	ds_read_b32 v56, v21 offset:2176                           // 00000000B6A8: D86C0880 38000015
	ds_read_b32 v57, v21 offset:2240                           // 00000000B6B0: D86C08C0 39000015
	ds_read_b32 v60, v21 offset:4352                           // 00000000B6B8: D86C1100 3C000015
	ds_read_b32 v61, v21 offset:4416                           // 00000000B6C0: D86C1140 3D000015
	ds_read_b32 v64, v21 offset:6528                           // 00000000B6C8: D86C1980 40000015
	ds_read_b32 v65, v21 offset:6592                           // 00000000B6D0: D86C19C0 41000015
	ds_read_b32 v68, v21 offset:8704                           // 00000000B6D8: D86C2200 44000015
	ds_read_b32 v69, v21 offset:8768                           // 00000000B6E0: D86C2240 45000015
	ds_read_b32 v72, v21 offset:10880                          // 00000000B6E8: D86C2A80 48000015
	ds_read_b32 v73, v21 offset:10944                          // 00000000B6F0: D86C2AC0 49000015
	ds_read_b32 v76, v21 offset:13056                          // 00000000B6F8: D86C3300 4C000015
	ds_read_b32 v77, v21 offset:13120                          // 00000000B700: D86C3340 4D000015
	ds_read_b32 v80, v21 offset:15232                          // 00000000B708: D86C3B80 50000015
	ds_read_b32 v81, v21 offset:15296                          // 00000000B710: D86C3BC0 51000015
	ds_read_b32 v84, v21 offset:17408                          // 00000000B718: D86C4400 54000015
	ds_read_b32 v85, v21 offset:17472                          // 00000000B720: D86C4440 55000015
	ds_read_b32 v88, v21 offset:19584                          // 00000000B728: D86C4C80 58000015
	ds_read_b32 v89, v21 offset:19648                          // 00000000B730: D86C4CC0 59000015
	ds_read_b32 v92, v21 offset:21760                          // 00000000B738: D86C5500 5C000015
	ds_read_b32 v93, v21 offset:21824                          // 00000000B740: D86C5540 5D000015
	ds_read_b32 v96, v21 offset:23936                          // 00000000B748: D86C5D80 60000015
	ds_read_b32 v97, v21 offset:24000                          // 00000000B750: D86C5DC0 61000015
	s_waitcnt lgkmcnt(0)                                       // 00000000B758: BF8CC07F
	s_mov_b32 s36, -1                                          // 00000000B75C: BEA400C1
	s_mov_b32 s37, -1                                          // 00000000B760: BEA500C1
	v_mov_b32_e32 v7, 0                                        // 00000000B764: 7E0E0280
	s_mov_b64 exec, s[36:37]                                   // 00000000B768: BEFE0124
	v_mov_b32_e32 v6, v42                                      // 00000000B76C: 7E0C032A
	s_mov_b64 s[60:61], 0                                      // 00000000B770: BEBC0180
	v_readlane_b32 s82, v3, 0                                  // 00000000B774: D2890052 00010103
	s_and_b32 s82, s82, 0xffffff                               // 00000000B77C: 8652FF52 00FFFFFF
	s_cmp_lt_u32 s82, s66                                      // 00000000B784: BF0A4252
	s_cselect_b32 s20, s36, s60                                // 00000000B788: 85143C24
	v_readlane_b32 s82, v3, 1                                  // 00000000B78C: D2890052 00010303
	s_and_b32 s82, s82, 0xffffff                               // 00000000B794: 8652FF52 00FFFFFF
	s_cmp_lt_u32 s82, s66                                      // 00000000B79C: BF0A4252
	s_cselect_b32 s21, s36, s60                                // 00000000B7A0: 85153C24
	s_mov_b64 exec, s[20:21]                                   // 00000000B7A4: BEFE0114
	global_atomic_add_f32 v6, v52, s[8:9]                      // 00000000B7A8: DD348000 00083406
	global_atomic_add_f32 v6, v56, s[8:9] offset:256           // 00000000B7B0: DD348100 00083806
	global_atomic_add_f32 v6, v60, s[8:9] offset:512           // 00000000B7B8: DD348200 00083C06
	global_atomic_add_f32 v6, v64, s[8:9] offset:768           // 00000000B7C0: DD348300 00084006
	s_mov_b64 exec, s[36:37]                                   // 00000000B7C8: BEFE0124
	v_mov_b32_e32 v6, v43                                      // 00000000B7CC: 7E0C032B
	s_mov_b64 s[60:61], 0                                      // 00000000B7D0: BEBC0180
	v_readlane_b32 s82, v3, 2                                  // 00000000B7D4: D2890052 00010503
	s_and_b32 s82, s82, 0xffffff                               // 00000000B7DC: 8652FF52 00FFFFFF
	s_cmp_lt_u32 s82, s66                                      // 00000000B7E4: BF0A4252
	s_cselect_b32 s20, s36, s60                                // 00000000B7E8: 85143C24
	v_readlane_b32 s82, v3, 3                                  // 00000000B7EC: D2890052 00010703
	s_and_b32 s82, s82, 0xffffff                               // 00000000B7F4: 8652FF52 00FFFFFF
	s_cmp_lt_u32 s82, s66                                      // 00000000B7FC: BF0A4252
	s_cselect_b32 s21, s36, s60                                // 00000000B800: 85153C24
	s_mov_b64 exec, s[20:21]                                   // 00000000B804: BEFE0114
	global_atomic_add_f32 v6, v53, s[8:9]                      // 00000000B808: DD348000 00083506
	global_atomic_add_f32 v6, v57, s[8:9] offset:256           // 00000000B810: DD348100 00083906
	global_atomic_add_f32 v6, v61, s[8:9] offset:512           // 00000000B818: DD348200 00083D06
	global_atomic_add_f32 v6, v65, s[8:9] offset:768           // 00000000B820: DD348300 00084106
	s_mov_b64 exec, s[36:37]                                   // 00000000B828: BEFE0124
	v_mov_b32_e32 v6, v44                                      // 00000000B82C: 7E0C032C
	s_mov_b64 s[60:61], 0                                      // 00000000B830: BEBC0180
	v_readlane_b32 s82, v3, 4                                  // 00000000B834: D2890052 00010903
	s_and_b32 s82, s82, 0xffffff                               // 00000000B83C: 8652FF52 00FFFFFF
	s_cmp_lt_u32 s82, s66                                      // 00000000B844: BF0A4252
	s_cselect_b32 s20, s36, s60                                // 00000000B848: 85143C24
	v_readlane_b32 s82, v3, 5                                  // 00000000B84C: D2890052 00010B03
	s_and_b32 s82, s82, 0xffffff                               // 00000000B854: 8652FF52 00FFFFFF
	s_cmp_lt_u32 s82, s66                                      // 00000000B85C: BF0A4252
	s_cselect_b32 s21, s36, s60                                // 00000000B860: 85153C24
	s_mov_b64 exec, s[20:21]                                   // 00000000B864: BEFE0114
	global_atomic_add_f32 v6, v68, s[8:9]                      // 00000000B868: DD348000 00084406
	global_atomic_add_f32 v6, v72, s[8:9] offset:256           // 00000000B870: DD348100 00084806
	global_atomic_add_f32 v6, v76, s[8:9] offset:512           // 00000000B878: DD348200 00084C06
	global_atomic_add_f32 v6, v80, s[8:9] offset:768           // 00000000B880: DD348300 00085006
	s_mov_b64 exec, s[36:37]                                   // 00000000B888: BEFE0124
	v_mov_b32_e32 v6, v45                                      // 00000000B88C: 7E0C032D
	s_mov_b64 s[60:61], 0                                      // 00000000B890: BEBC0180
	v_readlane_b32 s82, v3, 6                                  // 00000000B894: D2890052 00010D03
	s_and_b32 s82, s82, 0xffffff                               // 00000000B89C: 8652FF52 00FFFFFF
	s_cmp_lt_u32 s82, s66                                      // 00000000B8A4: BF0A4252
	s_cselect_b32 s20, s36, s60                                // 00000000B8A8: 85143C24
	v_readlane_b32 s82, v3, 7                                  // 00000000B8AC: D2890052 00010F03
	s_and_b32 s82, s82, 0xffffff                               // 00000000B8B4: 8652FF52 00FFFFFF
	s_cmp_lt_u32 s82, s66                                      // 00000000B8BC: BF0A4252
	s_cselect_b32 s21, s36, s60                                // 00000000B8C0: 85153C24
	s_mov_b64 exec, s[20:21]                                   // 00000000B8C4: BEFE0114
	global_atomic_add_f32 v6, v69, s[8:9]                      // 00000000B8C8: DD348000 00084506
	global_atomic_add_f32 v6, v73, s[8:9] offset:256           // 00000000B8D0: DD348100 00084906
	global_atomic_add_f32 v6, v77, s[8:9] offset:512           // 00000000B8D8: DD348200 00084D06
	global_atomic_add_f32 v6, v81, s[8:9] offset:768           // 00000000B8E0: DD348300 00085106
	s_mov_b64 exec, s[36:37]                                   // 00000000B8E8: BEFE0124
	v_mov_b32_e32 v6, v46                                      // 00000000B8EC: 7E0C032E
	s_mov_b64 s[60:61], 0                                      // 00000000B8F0: BEBC0180
	v_readlane_b32 s82, v3, 8                                  // 00000000B8F4: D2890052 00011103
	s_and_b32 s82, s82, 0xffffff                               // 00000000B8FC: 8652FF52 00FFFFFF
	s_cmp_lt_u32 s82, s66                                      // 00000000B904: BF0A4252
	s_cselect_b32 s20, s36, s60                                // 00000000B908: 85143C24
	v_readlane_b32 s82, v3, 9                                  // 00000000B90C: D2890052 00011303
	s_and_b32 s82, s82, 0xffffff                               // 00000000B914: 8652FF52 00FFFFFF
	s_cmp_lt_u32 s82, s66                                      // 00000000B91C: BF0A4252
	s_cselect_b32 s21, s36, s60                                // 00000000B920: 85153C24
	s_mov_b64 exec, s[20:21]                                   // 00000000B924: BEFE0114
	global_atomic_add_f32 v6, v84, s[8:9]                      // 00000000B928: DD348000 00085406
	global_atomic_add_f32 v6, v88, s[8:9] offset:256           // 00000000B930: DD348100 00085806
	global_atomic_add_f32 v6, v92, s[8:9] offset:512           // 00000000B938: DD348200 00085C06
	global_atomic_add_f32 v6, v96, s[8:9] offset:768           // 00000000B940: DD348300 00086006
	s_mov_b64 exec, s[36:37]                                   // 00000000B948: BEFE0124
	v_mov_b32_e32 v6, v47                                      // 00000000B94C: 7E0C032F
	s_mov_b64 s[60:61], 0                                      // 00000000B950: BEBC0180
	v_readlane_b32 s82, v3, 10                                 // 00000000B954: D2890052 00011503
	s_and_b32 s82, s82, 0xffffff                               // 00000000B95C: 8652FF52 00FFFFFF
	s_cmp_lt_u32 s82, s66                                      // 00000000B964: BF0A4252
	s_cselect_b32 s20, s36, s60                                // 00000000B968: 85143C24
	v_readlane_b32 s82, v3, 11                                 // 00000000B96C: D2890052 00011703
	s_and_b32 s82, s82, 0xffffff                               // 00000000B974: 8652FF52 00FFFFFF
	s_cmp_lt_u32 s82, s66                                      // 00000000B97C: BF0A4252
	s_cselect_b32 s21, s36, s60                                // 00000000B980: 85153C24
	s_mov_b64 exec, s[20:21]                                   // 00000000B984: BEFE0114
	global_atomic_add_f32 v6, v85, s[8:9]                      // 00000000B988: DD348000 00085506
	global_atomic_add_f32 v6, v89, s[8:9] offset:256           // 00000000B990: DD348100 00085906
	global_atomic_add_f32 v6, v93, s[8:9] offset:512           // 00000000B998: DD348200 00085D06
	global_atomic_add_f32 v6, v97, s[8:9] offset:768           // 00000000B9A0: DD348300 00086106
	s_mov_b64 exec, s[36:37]                                   // 00000000B9A8: BEFE0124
	ds_write_b64 v20, v[54:55]                                 // 00000000B9AC: D89A0000 00003614
	ds_write_b64 v20, v[58:59] offset:8704                     // 00000000B9B4: D89A2200 00003A14
	ds_write_b64 v20, v[62:63] offset:17408                    // 00000000B9BC: D89A4400 00003E14
	ds_write_b64 v20, v[66:67] offset:2176                     // 00000000B9C4: D89A0880 00004214
	ds_write_b64 v20, v[70:71] offset:10880                    // 00000000B9CC: D89A2A80 00004614
	ds_write_b64 v20, v[74:75] offset:19584                    // 00000000B9D4: D89A4C80 00004A14
	ds_write_b64 v20, v[78:79] offset:4352                     // 00000000B9DC: D89A1100 00004E14
	ds_write_b64 v20, v[82:83] offset:13056                    // 00000000B9E4: D89A3300 00005214
	ds_write_b64 v20, v[86:87] offset:21760                    // 00000000B9EC: D89A5500 00005614
	ds_write_b64 v20, v[90:91] offset:6528                     // 00000000B9F4: D89A1980 00005A14
	ds_write_b64 v20, v[94:95] offset:15232                    // 00000000B9FC: D89A3B80 00005E14
	ds_write_b64 v20, v[98:99] offset:23936                    // 00000000BA04: D89A5D80 00006214
	s_waitcnt lgkmcnt(0)                                       // 00000000BA0C: BF8CC07F
	s_barrier                                                  // 00000000BA10: BF8A0000
	ds_read_b32 v54, v21                                       // 00000000BA14: D86C0000 36000015
	ds_read_b32 v55, v21 offset:64                             // 00000000BA1C: D86C0040 37000015
	ds_read_b32 v58, v21 offset:2176                           // 00000000BA24: D86C0880 3A000015
	ds_read_b32 v59, v21 offset:2240                           // 00000000BA2C: D86C08C0 3B000015
	ds_read_b32 v62, v21 offset:4352                           // 00000000BA34: D86C1100 3E000015
	ds_read_b32 v63, v21 offset:4416                           // 00000000BA3C: D86C1140 3F000015
	ds_read_b32 v66, v21 offset:6528                           // 00000000BA44: D86C1980 42000015
	ds_read_b32 v67, v21 offset:6592                           // 00000000BA4C: D86C19C0 43000015
	ds_read_b32 v70, v21 offset:8704                           // 00000000BA54: D86C2200 46000015
	ds_read_b32 v71, v21 offset:8768                           // 00000000BA5C: D86C2240 47000015
	ds_read_b32 v74, v21 offset:10880                          // 00000000BA64: D86C2A80 4A000015
	ds_read_b32 v75, v21 offset:10944                          // 00000000BA6C: D86C2AC0 4B000015
	ds_read_b32 v78, v21 offset:13056                          // 00000000BA74: D86C3300 4E000015
	ds_read_b32 v79, v21 offset:13120                          // 00000000BA7C: D86C3340 4F000015
	ds_read_b32 v82, v21 offset:15232                          // 00000000BA84: D86C3B80 52000015
	ds_read_b32 v83, v21 offset:15296                          // 00000000BA8C: D86C3BC0 53000015
	ds_read_b32 v86, v21 offset:17408                          // 00000000BA94: D86C4400 56000015
	ds_read_b32 v87, v21 offset:17472                          // 00000000BA9C: D86C4440 57000015
	ds_read_b32 v90, v21 offset:19584                          // 00000000BAA4: D86C4C80 5A000015
	ds_read_b32 v91, v21 offset:19648                          // 00000000BAAC: D86C4CC0 5B000015
	ds_read_b32 v94, v21 offset:21760                          // 00000000BAB4: D86C5500 5E000015
	ds_read_b32 v95, v21 offset:21824                          // 00000000BABC: D86C5540 5F000015
	ds_read_b32 v98, v21 offset:23936                          // 00000000BAC4: D86C5D80 62000015
	ds_read_b32 v99, v21 offset:24000                          // 00000000BACC: D86C5DC0 63000015
	s_waitcnt lgkmcnt(0)                                       // 00000000BAD4: BF8CC07F
	v_mov_b32_e32 v7, 0                                        // 00000000BAD8: 7E0E0280
	s_mov_b64 exec, s[36:37]                                   // 00000000BADC: BEFE0124
	v_mov_b32_e32 v6, v42                                      // 00000000BAE0: 7E0C032A
	s_mov_b64 s[60:61], 0                                      // 00000000BAE4: BEBC0180
	v_readlane_b32 s82, v3, 0                                  // 00000000BAE8: D2890052 00010103
	s_and_b32 s82, s82, 0xffffff                               // 00000000BAF0: 8652FF52 00FFFFFF
	s_cmp_lt_u32 s82, s66                                      // 00000000BAF8: BF0A4252
	s_cselect_b32 s20, s36, s60                                // 00000000BAFC: 85143C24
	v_readlane_b32 s82, v3, 1                                  // 00000000BB00: D2890052 00010303
	s_and_b32 s82, s82, 0xffffff                               // 00000000BB08: 8652FF52 00FFFFFF
	s_cmp_lt_u32 s82, s66                                      // 00000000BB10: BF0A4252
	s_cselect_b32 s21, s36, s60                                // 00000000BB14: 85153C24
	s_mov_b64 exec, s[20:21]                                   // 00000000BB18: BEFE0114
	global_atomic_add_f32 v6, v54, s[8:9] offset:8             // 00000000BB1C: DD348008 00083606
	global_atomic_add_f32 v6, v58, s[8:9] offset:264           // 00000000BB24: DD348108 00083A06
	global_atomic_add_f32 v6, v62, s[8:9] offset:520           // 00000000BB2C: DD348208 00083E06
	global_atomic_add_f32 v6, v66, s[8:9] offset:776           // 00000000BB34: DD348308 00084206
	s_mov_b64 exec, s[36:37]                                   // 00000000BB3C: BEFE0124
	v_mov_b32_e32 v6, v43                                      // 00000000BB40: 7E0C032B
	s_mov_b64 s[60:61], 0                                      // 00000000BB44: BEBC0180
	v_readlane_b32 s82, v3, 2                                  // 00000000BB48: D2890052 00010503
	s_and_b32 s82, s82, 0xffffff                               // 00000000BB50: 8652FF52 00FFFFFF
	s_cmp_lt_u32 s82, s66                                      // 00000000BB58: BF0A4252
	s_cselect_b32 s20, s36, s60                                // 00000000BB5C: 85143C24
	v_readlane_b32 s82, v3, 3                                  // 00000000BB60: D2890052 00010703
	s_and_b32 s82, s82, 0xffffff                               // 00000000BB68: 8652FF52 00FFFFFF
	s_cmp_lt_u32 s82, s66                                      // 00000000BB70: BF0A4252
	s_cselect_b32 s21, s36, s60                                // 00000000BB74: 85153C24
	s_mov_b64 exec, s[20:21]                                   // 00000000BB78: BEFE0114
	global_atomic_add_f32 v6, v55, s[8:9] offset:8             // 00000000BB7C: DD348008 00083706
	global_atomic_add_f32 v6, v59, s[8:9] offset:264           // 00000000BB84: DD348108 00083B06
	global_atomic_add_f32 v6, v63, s[8:9] offset:520           // 00000000BB8C: DD348208 00083F06
	global_atomic_add_f32 v6, v67, s[8:9] offset:776           // 00000000BB94: DD348308 00084306
	s_mov_b64 exec, s[36:37]                                   // 00000000BB9C: BEFE0124
	v_mov_b32_e32 v6, v44                                      // 00000000BBA0: 7E0C032C
	s_mov_b64 s[60:61], 0                                      // 00000000BBA4: BEBC0180
	v_readlane_b32 s82, v3, 4                                  // 00000000BBA8: D2890052 00010903
	s_and_b32 s82, s82, 0xffffff                               // 00000000BBB0: 8652FF52 00FFFFFF
	s_cmp_lt_u32 s82, s66                                      // 00000000BBB8: BF0A4252
	s_cselect_b32 s20, s36, s60                                // 00000000BBBC: 85143C24
	v_readlane_b32 s82, v3, 5                                  // 00000000BBC0: D2890052 00010B03
	s_and_b32 s82, s82, 0xffffff                               // 00000000BBC8: 8652FF52 00FFFFFF
	s_cmp_lt_u32 s82, s66                                      // 00000000BBD0: BF0A4252
	s_cselect_b32 s21, s36, s60                                // 00000000BBD4: 85153C24
	s_mov_b64 exec, s[20:21]                                   // 00000000BBD8: BEFE0114
	global_atomic_add_f32 v6, v70, s[8:9] offset:8             // 00000000BBDC: DD348008 00084606
	global_atomic_add_f32 v6, v74, s[8:9] offset:264           // 00000000BBE4: DD348108 00084A06
	global_atomic_add_f32 v6, v78, s[8:9] offset:520           // 00000000BBEC: DD348208 00084E06
	global_atomic_add_f32 v6, v82, s[8:9] offset:776           // 00000000BBF4: DD348308 00085206
	s_mov_b64 exec, s[36:37]                                   // 00000000BBFC: BEFE0124
	v_mov_b32_e32 v6, v45                                      // 00000000BC00: 7E0C032D
	s_mov_b64 s[60:61], 0                                      // 00000000BC04: BEBC0180
	v_readlane_b32 s82, v3, 6                                  // 00000000BC08: D2890052 00010D03
	s_and_b32 s82, s82, 0xffffff                               // 00000000BC10: 8652FF52 00FFFFFF
	s_cmp_lt_u32 s82, s66                                      // 00000000BC18: BF0A4252
	s_cselect_b32 s20, s36, s60                                // 00000000BC1C: 85143C24
	v_readlane_b32 s82, v3, 7                                  // 00000000BC20: D2890052 00010F03
	s_and_b32 s82, s82, 0xffffff                               // 00000000BC28: 8652FF52 00FFFFFF
	s_cmp_lt_u32 s82, s66                                      // 00000000BC30: BF0A4252
	s_cselect_b32 s21, s36, s60                                // 00000000BC34: 85153C24
	s_mov_b64 exec, s[20:21]                                   // 00000000BC38: BEFE0114
	global_atomic_add_f32 v6, v71, s[8:9] offset:8             // 00000000BC3C: DD348008 00084706
	global_atomic_add_f32 v6, v75, s[8:9] offset:264           // 00000000BC44: DD348108 00084B06
	global_atomic_add_f32 v6, v79, s[8:9] offset:520           // 00000000BC4C: DD348208 00084F06
	global_atomic_add_f32 v6, v83, s[8:9] offset:776           // 00000000BC54: DD348308 00085306
	s_mov_b64 exec, s[36:37]                                   // 00000000BC5C: BEFE0124
	v_mov_b32_e32 v6, v46                                      // 00000000BC60: 7E0C032E
	s_mov_b64 s[60:61], 0                                      // 00000000BC64: BEBC0180
	v_readlane_b32 s82, v3, 8                                  // 00000000BC68: D2890052 00011103
	s_and_b32 s82, s82, 0xffffff                               // 00000000BC70: 8652FF52 00FFFFFF
	s_cmp_lt_u32 s82, s66                                      // 00000000BC78: BF0A4252
	s_cselect_b32 s20, s36, s60                                // 00000000BC7C: 85143C24
	v_readlane_b32 s82, v3, 9                                  // 00000000BC80: D2890052 00011303
	s_and_b32 s82, s82, 0xffffff                               // 00000000BC88: 8652FF52 00FFFFFF
	s_cmp_lt_u32 s82, s66                                      // 00000000BC90: BF0A4252
	s_cselect_b32 s21, s36, s60                                // 00000000BC94: 85153C24
	s_mov_b64 exec, s[20:21]                                   // 00000000BC98: BEFE0114
	global_atomic_add_f32 v6, v86, s[8:9] offset:8             // 00000000BC9C: DD348008 00085606
	global_atomic_add_f32 v6, v90, s[8:9] offset:264           // 00000000BCA4: DD348108 00085A06
	global_atomic_add_f32 v6, v94, s[8:9] offset:520           // 00000000BCAC: DD348208 00085E06
	global_atomic_add_f32 v6, v98, s[8:9] offset:776           // 00000000BCB4: DD348308 00086206
	s_mov_b64 exec, s[36:37]                                   // 00000000BCBC: BEFE0124
	v_mov_b32_e32 v6, v47                                      // 00000000BCC0: 7E0C032F
	s_mov_b64 s[60:61], 0                                      // 00000000BCC4: BEBC0180
	v_readlane_b32 s82, v3, 10                                 // 00000000BCC8: D2890052 00011503
	s_and_b32 s82, s82, 0xffffff                               // 00000000BCD0: 8652FF52 00FFFFFF
	s_cmp_lt_u32 s82, s66                                      // 00000000BCD8: BF0A4252
	s_cselect_b32 s20, s36, s60                                // 00000000BCDC: 85143C24
	v_readlane_b32 s82, v3, 11                                 // 00000000BCE0: D2890052 00011703
	s_and_b32 s82, s82, 0xffffff                               // 00000000BCE8: 8652FF52 00FFFFFF
	s_cmp_lt_u32 s82, s66                                      // 00000000BCF0: BF0A4252
	s_cselect_b32 s21, s36, s60                                // 00000000BCF4: 85153C24
	s_mov_b64 exec, s[20:21]                                   // 00000000BCF8: BEFE0114
	global_atomic_add_f32 v6, v87, s[8:9] offset:8             // 00000000BCFC: DD348008 00085706
	global_atomic_add_f32 v6, v91, s[8:9] offset:264           // 00000000BD04: DD348108 00085B06
	global_atomic_add_f32 v6, v95, s[8:9] offset:520           // 00000000BD0C: DD348208 00085F06
	global_atomic_add_f32 v6, v99, s[8:9] offset:776           // 00000000BD14: DD348308 00086306
	s_mov_b64 exec, s[36:37]                                   // 00000000BD1C: BEFE0124
	ds_write_b64 v20, v[100:101]                               // 00000000BD20: D89A0000 00006414
	ds_write_b64 v20, v[104:105] offset:8704                   // 00000000BD28: D89A2200 00006814
	ds_write_b64 v20, v[108:109] offset:17408                  // 00000000BD30: D89A4400 00006C14
	ds_write_b64 v20, v[112:113] offset:2176                   // 00000000BD38: D89A0880 00007014
	ds_write_b64 v20, v[116:117] offset:10880                  // 00000000BD40: D89A2A80 00007414
	ds_write_b64 v20, v[120:121] offset:19584                  // 00000000BD48: D89A4C80 00007814
	ds_write_b64 v20, v[124:125] offset:4352                   // 00000000BD50: D89A1100 00007C14
	ds_write_b64 v20, v[128:129] offset:13056                  // 00000000BD58: D89A3300 00008014
	ds_write_b64 v20, v[132:133] offset:21760                  // 00000000BD60: D89A5500 00008414
	ds_write_b64 v20, v[136:137] offset:6528                   // 00000000BD68: D89A1980 00008814
	ds_write_b64 v20, v[140:141] offset:15232                  // 00000000BD70: D89A3B80 00008C14
	ds_write_b64 v20, v[144:145] offset:23936                  // 00000000BD78: D89A5D80 00009014
	s_waitcnt lgkmcnt(0)                                       // 00000000BD80: BF8CC07F
	s_barrier                                                  // 00000000BD84: BF8A0000
	ds_read_b32 v100, v21                                      // 00000000BD88: D86C0000 64000015
	ds_read_b32 v101, v21 offset:64                            // 00000000BD90: D86C0040 65000015
	ds_read_b32 v104, v21 offset:2176                          // 00000000BD98: D86C0880 68000015
	ds_read_b32 v105, v21 offset:2240                          // 00000000BDA0: D86C08C0 69000015
	ds_read_b32 v108, v21 offset:4352                          // 00000000BDA8: D86C1100 6C000015
	ds_read_b32 v109, v21 offset:4416                          // 00000000BDB0: D86C1140 6D000015
	ds_read_b32 v112, v21 offset:6528                          // 00000000BDB8: D86C1980 70000015
	ds_read_b32 v113, v21 offset:6592                          // 00000000BDC0: D86C19C0 71000015
	ds_read_b32 v116, v21 offset:8704                          // 00000000BDC8: D86C2200 74000015
	ds_read_b32 v117, v21 offset:8768                          // 00000000BDD0: D86C2240 75000015
	ds_read_b32 v120, v21 offset:10880                         // 00000000BDD8: D86C2A80 78000015
	ds_read_b32 v121, v21 offset:10944                         // 00000000BDE0: D86C2AC0 79000015
	ds_read_b32 v124, v21 offset:13056                         // 00000000BDE8: D86C3300 7C000015
	ds_read_b32 v125, v21 offset:13120                         // 00000000BDF0: D86C3340 7D000015
	ds_read_b32 v128, v21 offset:15232                         // 00000000BDF8: D86C3B80 80000015
	ds_read_b32 v129, v21 offset:15296                         // 00000000BE00: D86C3BC0 81000015
	ds_read_b32 v132, v21 offset:17408                         // 00000000BE08: D86C4400 84000015
	ds_read_b32 v133, v21 offset:17472                         // 00000000BE10: D86C4440 85000015
	ds_read_b32 v136, v21 offset:19584                         // 00000000BE18: D86C4C80 88000015
	ds_read_b32 v137, v21 offset:19648                         // 00000000BE20: D86C4CC0 89000015
	ds_read_b32 v140, v21 offset:21760                         // 00000000BE28: D86C5500 8C000015
	ds_read_b32 v141, v21 offset:21824                         // 00000000BE30: D86C5540 8D000015
	ds_read_b32 v144, v21 offset:23936                         // 00000000BE38: D86C5D80 90000015
	ds_read_b32 v145, v21 offset:24000                         // 00000000BE40: D86C5DC0 91000015
	s_mul_i32 s60, s65, 4                                      // 00000000BE48: 923C8441
	s_add_u32 s8, s60, s8                                      // 00000000BE4C: 8008083C
	s_addc_u32 s9, 0, s9                                       // 00000000BE50: 82090980
	s_waitcnt lgkmcnt(0)                                       // 00000000BE54: BF8CC07F
	v_mov_b32_e32 v7, 0                                        // 00000000BE58: 7E0E0280
	s_mov_b64 exec, s[36:37]                                   // 00000000BE5C: BEFE0124
	v_mov_b32_e32 v6, v42                                      // 00000000BE60: 7E0C032A
	s_mov_b64 s[60:61], 0                                      // 00000000BE64: BEBC0180
	v_readlane_b32 s82, v3, 0                                  // 00000000BE68: D2890052 00010103
	s_and_b32 s82, s82, 0xffffff                               // 00000000BE70: 8652FF52 00FFFFFF
	s_cmp_lt_u32 s82, s66                                      // 00000000BE78: BF0A4252
	s_cselect_b32 s20, s36, s60                                // 00000000BE7C: 85143C24
	v_readlane_b32 s82, v3, 1                                  // 00000000BE80: D2890052 00010303
	s_and_b32 s82, s82, 0xffffff                               // 00000000BE88: 8652FF52 00FFFFFF
	s_cmp_lt_u32 s82, s66                                      // 00000000BE90: BF0A4252
	s_cselect_b32 s21, s36, s60                                // 00000000BE94: 85153C24
	s_mov_b64 exec, s[20:21]                                   // 00000000BE98: BEFE0114
	global_atomic_add_f32 v6, v100, s[8:9]                     // 00000000BE9C: DD348000 00086406
	global_atomic_add_f32 v6, v104, s[8:9] offset:256          // 00000000BEA4: DD348100 00086806
	global_atomic_add_f32 v6, v108, s[8:9] offset:512          // 00000000BEAC: DD348200 00086C06
	global_atomic_add_f32 v6, v112, s[8:9] offset:768          // 00000000BEB4: DD348300 00087006
	s_mov_b64 exec, s[36:37]                                   // 00000000BEBC: BEFE0124
	v_mov_b32_e32 v6, v43                                      // 00000000BEC0: 7E0C032B
	s_mov_b64 s[60:61], 0                                      // 00000000BEC4: BEBC0180
	v_readlane_b32 s82, v3, 2                                  // 00000000BEC8: D2890052 00010503
	s_and_b32 s82, s82, 0xffffff                               // 00000000BED0: 8652FF52 00FFFFFF
	s_cmp_lt_u32 s82, s66                                      // 00000000BED8: BF0A4252
	s_cselect_b32 s20, s36, s60                                // 00000000BEDC: 85143C24
	v_readlane_b32 s82, v3, 3                                  // 00000000BEE0: D2890052 00010703
	s_and_b32 s82, s82, 0xffffff                               // 00000000BEE8: 8652FF52 00FFFFFF
	s_cmp_lt_u32 s82, s66                                      // 00000000BEF0: BF0A4252
	s_cselect_b32 s21, s36, s60                                // 00000000BEF4: 85153C24
	s_mov_b64 exec, s[20:21]                                   // 00000000BEF8: BEFE0114
	global_atomic_add_f32 v6, v101, s[8:9]                     // 00000000BEFC: DD348000 00086506
	global_atomic_add_f32 v6, v105, s[8:9] offset:256          // 00000000BF04: DD348100 00086906
	global_atomic_add_f32 v6, v109, s[8:9] offset:512          // 00000000BF0C: DD348200 00086D06
	global_atomic_add_f32 v6, v113, s[8:9] offset:768          // 00000000BF14: DD348300 00087106
	s_mov_b64 exec, s[36:37]                                   // 00000000BF1C: BEFE0124
	v_mov_b32_e32 v6, v44                                      // 00000000BF20: 7E0C032C
	s_mov_b64 s[60:61], 0                                      // 00000000BF24: BEBC0180
	v_readlane_b32 s82, v3, 4                                  // 00000000BF28: D2890052 00010903
	s_and_b32 s82, s82, 0xffffff                               // 00000000BF30: 8652FF52 00FFFFFF
	s_cmp_lt_u32 s82, s66                                      // 00000000BF38: BF0A4252
	s_cselect_b32 s20, s36, s60                                // 00000000BF3C: 85143C24
	v_readlane_b32 s82, v3, 5                                  // 00000000BF40: D2890052 00010B03
	s_and_b32 s82, s82, 0xffffff                               // 00000000BF48: 8652FF52 00FFFFFF
	s_cmp_lt_u32 s82, s66                                      // 00000000BF50: BF0A4252
	s_cselect_b32 s21, s36, s60                                // 00000000BF54: 85153C24
	s_mov_b64 exec, s[20:21]                                   // 00000000BF58: BEFE0114
	global_atomic_add_f32 v6, v116, s[8:9]                     // 00000000BF5C: DD348000 00087406
	global_atomic_add_f32 v6, v120, s[8:9] offset:256          // 00000000BF64: DD348100 00087806
	global_atomic_add_f32 v6, v124, s[8:9] offset:512          // 00000000BF6C: DD348200 00087C06
	global_atomic_add_f32 v6, v128, s[8:9] offset:768          // 00000000BF74: DD348300 00088006
	s_mov_b64 exec, s[36:37]                                   // 00000000BF7C: BEFE0124
	v_mov_b32_e32 v6, v45                                      // 00000000BF80: 7E0C032D
	s_mov_b64 s[60:61], 0                                      // 00000000BF84: BEBC0180
	v_readlane_b32 s82, v3, 6                                  // 00000000BF88: D2890052 00010D03
	s_and_b32 s82, s82, 0xffffff                               // 00000000BF90: 8652FF52 00FFFFFF
	s_cmp_lt_u32 s82, s66                                      // 00000000BF98: BF0A4252
	s_cselect_b32 s20, s36, s60                                // 00000000BF9C: 85143C24
	v_readlane_b32 s82, v3, 7                                  // 00000000BFA0: D2890052 00010F03
	s_and_b32 s82, s82, 0xffffff                               // 00000000BFA8: 8652FF52 00FFFFFF
	s_cmp_lt_u32 s82, s66                                      // 00000000BFB0: BF0A4252
	s_cselect_b32 s21, s36, s60                                // 00000000BFB4: 85153C24
	s_mov_b64 exec, s[20:21]                                   // 00000000BFB8: BEFE0114
	global_atomic_add_f32 v6, v117, s[8:9]                     // 00000000BFBC: DD348000 00087506
	global_atomic_add_f32 v6, v121, s[8:9] offset:256          // 00000000BFC4: DD348100 00087906
	global_atomic_add_f32 v6, v125, s[8:9] offset:512          // 00000000BFCC: DD348200 00087D06
	global_atomic_add_f32 v6, v129, s[8:9] offset:768          // 00000000BFD4: DD348300 00088106
	s_mov_b64 exec, s[36:37]                                   // 00000000BFDC: BEFE0124
	v_mov_b32_e32 v6, v46                                      // 00000000BFE0: 7E0C032E
	s_mov_b64 s[60:61], 0                                      // 00000000BFE4: BEBC0180
	v_readlane_b32 s82, v3, 8                                  // 00000000BFE8: D2890052 00011103
	s_and_b32 s82, s82, 0xffffff                               // 00000000BFF0: 8652FF52 00FFFFFF
	s_cmp_lt_u32 s82, s66                                      // 00000000BFF8: BF0A4252
	s_cselect_b32 s20, s36, s60                                // 00000000BFFC: 85143C24
	v_readlane_b32 s82, v3, 9                                  // 00000000C000: D2890052 00011303
	s_and_b32 s82, s82, 0xffffff                               // 00000000C008: 8652FF52 00FFFFFF
	s_cmp_lt_u32 s82, s66                                      // 00000000C010: BF0A4252
	s_cselect_b32 s21, s36, s60                                // 00000000C014: 85153C24
	s_mov_b64 exec, s[20:21]                                   // 00000000C018: BEFE0114
	global_atomic_add_f32 v6, v132, s[8:9]                     // 00000000C01C: DD348000 00088406
	global_atomic_add_f32 v6, v136, s[8:9] offset:256          // 00000000C024: DD348100 00088806
	global_atomic_add_f32 v6, v140, s[8:9] offset:512          // 00000000C02C: DD348200 00088C06
	global_atomic_add_f32 v6, v144, s[8:9] offset:768          // 00000000C034: DD348300 00089006
	s_mov_b64 exec, s[36:37]                                   // 00000000C03C: BEFE0124
	v_mov_b32_e32 v6, v47                                      // 00000000C040: 7E0C032F
	s_mov_b64 s[60:61], 0                                      // 00000000C044: BEBC0180
	v_readlane_b32 s82, v3, 10                                 // 00000000C048: D2890052 00011503
	s_and_b32 s82, s82, 0xffffff                               // 00000000C050: 8652FF52 00FFFFFF
	s_cmp_lt_u32 s82, s66                                      // 00000000C058: BF0A4252
	s_cselect_b32 s20, s36, s60                                // 00000000C05C: 85143C24
	v_readlane_b32 s82, v3, 11                                 // 00000000C060: D2890052 00011703
	s_and_b32 s82, s82, 0xffffff                               // 00000000C068: 8652FF52 00FFFFFF
	s_cmp_lt_u32 s82, s66                                      // 00000000C070: BF0A4252
	s_cselect_b32 s21, s36, s60                                // 00000000C074: 85153C24
	s_mov_b64 exec, s[20:21]                                   // 00000000C078: BEFE0114
	global_atomic_add_f32 v6, v133, s[8:9]                     // 00000000C07C: DD348000 00088506
	global_atomic_add_f32 v6, v137, s[8:9] offset:256          // 00000000C084: DD348100 00088906
	global_atomic_add_f32 v6, v141, s[8:9] offset:512          // 00000000C08C: DD348200 00088D06
	global_atomic_add_f32 v6, v145, s[8:9] offset:768          // 00000000C094: DD348300 00089106
	s_mov_b64 exec, s[36:37]                                   // 00000000C09C: BEFE0124
	ds_write_b64 v20, v[102:103]                               // 00000000C0A0: D89A0000 00006614
	ds_write_b64 v20, v[106:107] offset:8704                   // 00000000C0A8: D89A2200 00006A14
	ds_write_b64 v20, v[110:111] offset:17408                  // 00000000C0B0: D89A4400 00006E14
	ds_write_b64 v20, v[114:115] offset:2176                   // 00000000C0B8: D89A0880 00007214
	ds_write_b64 v20, v[118:119] offset:10880                  // 00000000C0C0: D89A2A80 00007614
	ds_write_b64 v20, v[122:123] offset:19584                  // 00000000C0C8: D89A4C80 00007A14
	ds_write_b64 v20, v[126:127] offset:4352                   // 00000000C0D0: D89A1100 00007E14
	ds_write_b64 v20, v[130:131] offset:13056                  // 00000000C0D8: D89A3300 00008214
	ds_write_b64 v20, v[134:135] offset:21760                  // 00000000C0E0: D89A5500 00008614
	ds_write_b64 v20, v[138:139] offset:6528                   // 00000000C0E8: D89A1980 00008A14
	ds_write_b64 v20, v[142:143] offset:15232                  // 00000000C0F0: D89A3B80 00008E14
	ds_write_b64 v20, v[146:147] offset:23936                  // 00000000C0F8: D89A5D80 00009214
	s_waitcnt lgkmcnt(0)                                       // 00000000C100: BF8CC07F
	s_barrier                                                  // 00000000C104: BF8A0000
	ds_read_b32 v102, v21                                      // 00000000C108: D86C0000 66000015
	ds_read_b32 v103, v21 offset:64                            // 00000000C110: D86C0040 67000015
	ds_read_b32 v106, v21 offset:2176                          // 00000000C118: D86C0880 6A000015
	ds_read_b32 v107, v21 offset:2240                          // 00000000C120: D86C08C0 6B000015
	ds_read_b32 v110, v21 offset:4352                          // 00000000C128: D86C1100 6E000015
	ds_read_b32 v111, v21 offset:4416                          // 00000000C130: D86C1140 6F000015
	ds_read_b32 v114, v21 offset:6528                          // 00000000C138: D86C1980 72000015
	ds_read_b32 v115, v21 offset:6592                          // 00000000C140: D86C19C0 73000015
	ds_read_b32 v118, v21 offset:8704                          // 00000000C148: D86C2200 76000015
	ds_read_b32 v119, v21 offset:8768                          // 00000000C150: D86C2240 77000015
	ds_read_b32 v122, v21 offset:10880                         // 00000000C158: D86C2A80 7A000015
	ds_read_b32 v123, v21 offset:10944                         // 00000000C160: D86C2AC0 7B000015
	ds_read_b32 v126, v21 offset:13056                         // 00000000C168: D86C3300 7E000015
	ds_read_b32 v127, v21 offset:13120                         // 00000000C170: D86C3340 7F000015
	ds_read_b32 v130, v21 offset:15232                         // 00000000C178: D86C3B80 82000015
	ds_read_b32 v131, v21 offset:15296                         // 00000000C180: D86C3BC0 83000015
	ds_read_b32 v134, v21 offset:17408                         // 00000000C188: D86C4400 86000015
	ds_read_b32 v135, v21 offset:17472                         // 00000000C190: D86C4440 87000015
	ds_read_b32 v138, v21 offset:19584                         // 00000000C198: D86C4C80 8A000015
	ds_read_b32 v139, v21 offset:19648                         // 00000000C1A0: D86C4CC0 8B000015
	ds_read_b32 v142, v21 offset:21760                         // 00000000C1A8: D86C5500 8E000015
	ds_read_b32 v143, v21 offset:21824                         // 00000000C1B0: D86C5540 8F000015
	ds_read_b32 v146, v21 offset:23936                         // 00000000C1B8: D86C5D80 92000015
	ds_read_b32 v147, v21 offset:24000                         // 00000000C1C0: D86C5DC0 93000015
	s_waitcnt lgkmcnt(0)                                       // 00000000C1C8: BF8CC07F
	v_mov_b32_e32 v7, 0                                        // 00000000C1CC: 7E0E0280
	s_mov_b64 exec, s[36:37]                                   // 00000000C1D0: BEFE0124
	v_mov_b32_e32 v6, v42                                      // 00000000C1D4: 7E0C032A
	s_mov_b64 s[60:61], 0                                      // 00000000C1D8: BEBC0180
	v_readlane_b32 s82, v3, 0                                  // 00000000C1DC: D2890052 00010103
	s_and_b32 s82, s82, 0xffffff                               // 00000000C1E4: 8652FF52 00FFFFFF
	s_cmp_lt_u32 s82, s66                                      // 00000000C1EC: BF0A4252
	s_cselect_b32 s20, s36, s60                                // 00000000C1F0: 85143C24
	v_readlane_b32 s82, v3, 1                                  // 00000000C1F4: D2890052 00010303
	s_and_b32 s82, s82, 0xffffff                               // 00000000C1FC: 8652FF52 00FFFFFF
	s_cmp_lt_u32 s82, s66                                      // 00000000C204: BF0A4252
	s_cselect_b32 s21, s36, s60                                // 00000000C208: 85153C24
	s_mov_b64 exec, s[20:21]                                   // 00000000C20C: BEFE0114
	global_atomic_add_f32 v6, v102, s[8:9] offset:8            // 00000000C210: DD348008 00086606
	global_atomic_add_f32 v6, v106, s[8:9] offset:264          // 00000000C218: DD348108 00086A06
	global_atomic_add_f32 v6, v110, s[8:9] offset:520          // 00000000C220: DD348208 00086E06
	global_atomic_add_f32 v6, v114, s[8:9] offset:776          // 00000000C228: DD348308 00087206
	s_mov_b64 exec, s[36:37]                                   // 00000000C230: BEFE0124
	v_mov_b32_e32 v6, v43                                      // 00000000C234: 7E0C032B
	s_mov_b64 s[60:61], 0                                      // 00000000C238: BEBC0180
	v_readlane_b32 s82, v3, 2                                  // 00000000C23C: D2890052 00010503
	s_and_b32 s82, s82, 0xffffff                               // 00000000C244: 8652FF52 00FFFFFF
	s_cmp_lt_u32 s82, s66                                      // 00000000C24C: BF0A4252
	s_cselect_b32 s20, s36, s60                                // 00000000C250: 85143C24
	v_readlane_b32 s82, v3, 3                                  // 00000000C254: D2890052 00010703
	s_and_b32 s82, s82, 0xffffff                               // 00000000C25C: 8652FF52 00FFFFFF
	s_cmp_lt_u32 s82, s66                                      // 00000000C264: BF0A4252
	s_cselect_b32 s21, s36, s60                                // 00000000C268: 85153C24
	s_mov_b64 exec, s[20:21]                                   // 00000000C26C: BEFE0114
	global_atomic_add_f32 v6, v103, s[8:9] offset:8            // 00000000C270: DD348008 00086706
	global_atomic_add_f32 v6, v107, s[8:9] offset:264          // 00000000C278: DD348108 00086B06
	global_atomic_add_f32 v6, v111, s[8:9] offset:520          // 00000000C280: DD348208 00086F06
	global_atomic_add_f32 v6, v115, s[8:9] offset:776          // 00000000C288: DD348308 00087306
	s_mov_b64 exec, s[36:37]                                   // 00000000C290: BEFE0124
	v_mov_b32_e32 v6, v44                                      // 00000000C294: 7E0C032C
	s_mov_b64 s[60:61], 0                                      // 00000000C298: BEBC0180
	v_readlane_b32 s82, v3, 4                                  // 00000000C29C: D2890052 00010903
	s_and_b32 s82, s82, 0xffffff                               // 00000000C2A4: 8652FF52 00FFFFFF
	s_cmp_lt_u32 s82, s66                                      // 00000000C2AC: BF0A4252
	s_cselect_b32 s20, s36, s60                                // 00000000C2B0: 85143C24
	v_readlane_b32 s82, v3, 5                                  // 00000000C2B4: D2890052 00010B03
	s_and_b32 s82, s82, 0xffffff                               // 00000000C2BC: 8652FF52 00FFFFFF
	s_cmp_lt_u32 s82, s66                                      // 00000000C2C4: BF0A4252
	s_cselect_b32 s21, s36, s60                                // 00000000C2C8: 85153C24
	s_mov_b64 exec, s[20:21]                                   // 00000000C2CC: BEFE0114
	global_atomic_add_f32 v6, v118, s[8:9] offset:8            // 00000000C2D0: DD348008 00087606
	global_atomic_add_f32 v6, v122, s[8:9] offset:264          // 00000000C2D8: DD348108 00087A06
	global_atomic_add_f32 v6, v126, s[8:9] offset:520          // 00000000C2E0: DD348208 00087E06
	global_atomic_add_f32 v6, v130, s[8:9] offset:776          // 00000000C2E8: DD348308 00088206
	s_mov_b64 exec, s[36:37]                                   // 00000000C2F0: BEFE0124
	v_mov_b32_e32 v6, v45                                      // 00000000C2F4: 7E0C032D
	s_mov_b64 s[60:61], 0                                      // 00000000C2F8: BEBC0180
	v_readlane_b32 s82, v3, 6                                  // 00000000C2FC: D2890052 00010D03
	s_and_b32 s82, s82, 0xffffff                               // 00000000C304: 8652FF52 00FFFFFF
	s_cmp_lt_u32 s82, s66                                      // 00000000C30C: BF0A4252
	s_cselect_b32 s20, s36, s60                                // 00000000C310: 85143C24
	v_readlane_b32 s82, v3, 7                                  // 00000000C314: D2890052 00010F03
	s_and_b32 s82, s82, 0xffffff                               // 00000000C31C: 8652FF52 00FFFFFF
	s_cmp_lt_u32 s82, s66                                      // 00000000C324: BF0A4252
	s_cselect_b32 s21, s36, s60                                // 00000000C328: 85153C24
	s_mov_b64 exec, s[20:21]                                   // 00000000C32C: BEFE0114
	global_atomic_add_f32 v6, v119, s[8:9] offset:8            // 00000000C330: DD348008 00087706
	global_atomic_add_f32 v6, v123, s[8:9] offset:264          // 00000000C338: DD348108 00087B06
	global_atomic_add_f32 v6, v127, s[8:9] offset:520          // 00000000C340: DD348208 00087F06
	global_atomic_add_f32 v6, v131, s[8:9] offset:776          // 00000000C348: DD348308 00088306
	s_mov_b64 exec, s[36:37]                                   // 00000000C350: BEFE0124
	v_mov_b32_e32 v6, v46                                      // 00000000C354: 7E0C032E
	s_mov_b64 s[60:61], 0                                      // 00000000C358: BEBC0180
	v_readlane_b32 s82, v3, 8                                  // 00000000C35C: D2890052 00011103
	s_and_b32 s82, s82, 0xffffff                               // 00000000C364: 8652FF52 00FFFFFF
	s_cmp_lt_u32 s82, s66                                      // 00000000C36C: BF0A4252
	s_cselect_b32 s20, s36, s60                                // 00000000C370: 85143C24
	v_readlane_b32 s82, v3, 9                                  // 00000000C374: D2890052 00011303
	s_and_b32 s82, s82, 0xffffff                               // 00000000C37C: 8652FF52 00FFFFFF
	s_cmp_lt_u32 s82, s66                                      // 00000000C384: BF0A4252
	s_cselect_b32 s21, s36, s60                                // 00000000C388: 85153C24
	s_mov_b64 exec, s[20:21]                                   // 00000000C38C: BEFE0114
	global_atomic_add_f32 v6, v134, s[8:9] offset:8            // 00000000C390: DD348008 00088606
	global_atomic_add_f32 v6, v138, s[8:9] offset:264          // 00000000C398: DD348108 00088A06
	global_atomic_add_f32 v6, v142, s[8:9] offset:520          // 00000000C3A0: DD348208 00088E06
	global_atomic_add_f32 v6, v146, s[8:9] offset:776          // 00000000C3A8: DD348308 00089206
	s_mov_b64 exec, s[36:37]                                   // 00000000C3B0: BEFE0124
	v_mov_b32_e32 v6, v47                                      // 00000000C3B4: 7E0C032F
	s_mov_b64 s[60:61], 0                                      // 00000000C3B8: BEBC0180
	v_readlane_b32 s82, v3, 10                                 // 00000000C3BC: D2890052 00011503
	s_and_b32 s82, s82, 0xffffff                               // 00000000C3C4: 8652FF52 00FFFFFF
	s_cmp_lt_u32 s82, s66                                      // 00000000C3CC: BF0A4252
	s_cselect_b32 s20, s36, s60                                // 00000000C3D0: 85143C24
	v_readlane_b32 s82, v3, 11                                 // 00000000C3D4: D2890052 00011703
	s_and_b32 s82, s82, 0xffffff                               // 00000000C3DC: 8652FF52 00FFFFFF
	s_cmp_lt_u32 s82, s66                                      // 00000000C3E4: BF0A4252
	s_cselect_b32 s21, s36, s60                                // 00000000C3E8: 85153C24
	s_mov_b64 exec, s[20:21]                                   // 00000000C3EC: BEFE0114
	global_atomic_add_f32 v6, v135, s[8:9] offset:8            // 00000000C3F0: DD348008 00088706
	global_atomic_add_f32 v6, v139, s[8:9] offset:264          // 00000000C3F8: DD348108 00088B06
	global_atomic_add_f32 v6, v143, s[8:9] offset:520          // 00000000C400: DD348208 00088F06
	global_atomic_add_f32 v6, v147, s[8:9] offset:776          // 00000000C408: DD348308 00089306
	s_mov_b64 exec, s[36:37]                                   // 00000000C410: BEFE0124
	s_branch label_2689                                        // 00000000C414: BF820000

000000000000c418 <label_2689>:
	s_waitcnt vmcnt(0) expcnt(0) lgkmcnt(0)                    // 00000000C418: BF8C0000
	s_endpgm                                                   // 00000000C41C: BF810000
